;; amdgpu-corpus repo=ROCm/rocSPARSE kind=compiled arch=gfx906 opt=O3
	.amdgcn_target "amdgcn-amd-amdhsa--gfx906"
	.amdhsa_code_object_version 6
	.section	.text._ZN9rocsparseL22dense_transpose_kernelILj32ELj8EiffEEvT1_S1_T3_PKT2_lPS3_l,"axG",@progbits,_ZN9rocsparseL22dense_transpose_kernelILj32ELj8EiffEEvT1_S1_T3_PKT2_lPS3_l,comdat
	.globl	_ZN9rocsparseL22dense_transpose_kernelILj32ELj8EiffEEvT1_S1_T3_PKT2_lPS3_l ; -- Begin function _ZN9rocsparseL22dense_transpose_kernelILj32ELj8EiffEEvT1_S1_T3_PKT2_lPS3_l
	.p2align	8
	.type	_ZN9rocsparseL22dense_transpose_kernelILj32ELj8EiffEEvT1_S1_T3_PKT2_lPS3_l,@function
_ZN9rocsparseL22dense_transpose_kernelILj32ELj8EiffEEvT1_S1_T3_PKT2_lPS3_l: ; @_ZN9rocsparseL22dense_transpose_kernelILj32ELj8EiffEEvT1_S1_T3_PKT2_lPS3_l
; %bb.0:
	s_load_dwordx4 s[20:23], s[4:5], 0x0
	s_waitcnt lgkmcnt(0)
	s_cmp_lt_i32 s21, 1
	s_cbranch_scc1 .LBB0_20
; %bb.1:
	s_load_dwordx8 s[12:19], s[4:5], 0x10
	v_and_b32_e32 v8, 31, v0
	s_lshl_b32 s0, s6, 5
	v_lshrrev_b32_e32 v9, 5, v0
	v_or_b32_e32 v0, s0, v8
	v_ashrrev_i32_e32 v1, 31, v0
	v_cmp_gt_i32_e32 vcc, s20, v0
	v_lshlrev_b64 v[0:1], 2, v[0:1]
	v_or_b32_e32 v7, s0, v9
	s_waitcnt lgkmcnt(0)
	v_add_co_u32_e64 v10, s[0:1], s12, v0
	v_lshlrev_b32_e32 v0, 2, v8
	v_mov_b32_e32 v2, s13
	v_lshl_or_b32 v12, v9, 7, v0
	v_lshlrev_b32_e32 v0, 2, v9
	v_or_b32_e32 v14, 8, v7
	v_addc_co_u32_e64 v11, s[0:1], v2, v1, s[0:1]
	v_lshl_or_b32 v13, v8, 7, v0
	v_mad_u64_u32 v[0:1], s[0:1], s18, v7, 0
	v_mad_u64_u32 v[2:3], s[0:1], s18, v14, 0
	v_or_b32_e32 v17, 16, v7
	v_or_b32_e32 v18, 24, v7
	v_mad_u64_u32 v[4:5], s[0:1], s19, v7, v[1:2]
	v_mov_b32_e32 v1, v3
	v_mad_u64_u32 v[5:6], s[0:1], s19, v14, v[1:2]
	v_cmp_le_u32_e64 s[0:1], s20, v7
	v_mov_b32_e32 v1, v4
	v_mov_b32_e32 v3, v5
	v_mad_u64_u32 v[4:5], s[4:5], s18, v17, 0
	v_mad_u64_u32 v[6:7], s[4:5], s18, v18, 0
	v_cmp_le_u32_e64 s[2:3], s20, v14
	v_lshlrev_b64 v[0:1], 2, v[0:1]
	v_mad_u64_u32 v[14:15], s[4:5], s19, v17, v[5:6]
	v_mov_b32_e32 v5, v7
	v_mad_u64_u32 v[15:16], s[4:5], s19, v18, v[5:6]
	v_mov_b32_e32 v5, v14
	v_lshlrev_b64 v[2:3], 2, v[2:3]
	v_mov_b32_e32 v7, v15
	v_lshlrev_b64 v[4:5], 2, v[4:5]
	v_lshlrev_b64 v[6:7], 2, v[6:7]
	v_cmp_le_u32_e64 s[4:5], s20, v17
	v_cmp_le_u32_e64 s[6:7], s20, v18
	s_mov_b32 s18, 0
	s_branch .LBB0_3
.LBB0_2:                                ;   in Loop: Header=BB0_3 Depth=1
	s_or_b64 exec, exec, s[10:11]
	s_add_i32 s18, s18, 32
	s_cmp_lt_i32 s18, s21
	s_cbranch_scc0 .LBB0_20
.LBB0_3:                                ; =>This Inner Loop Header: Depth=1
	v_add_u32_e32 v14, s18, v9
	v_cmp_gt_u32_e64 s[8:9], s21, v14
	s_and_b64 s[8:9], vcc, s[8:9]
	s_waitcnt vmcnt(0)
	s_barrier
	s_and_saveexec_b64 s[10:11], s[8:9]
	s_cbranch_execz .LBB0_5
; %bb.4:                                ;   in Loop: Header=BB0_3 Depth=1
	v_mad_u64_u32 v[15:16], s[8:9], s14, v14, 0
	v_mad_u64_u32 v[16:17], s[8:9], s15, v14, v[16:17]
	v_lshlrev_b64 v[15:16], 2, v[15:16]
	v_add_co_u32_e64 v15, s[8:9], v10, v15
	v_addc_co_u32_e64 v16, s[8:9], v11, v16, s[8:9]
	global_load_dword v15, v[15:16], off
	s_waitcnt vmcnt(0)
	ds_write_b32 v12, v15
.LBB0_5:                                ;   in Loop: Header=BB0_3 Depth=1
	s_or_b64 exec, exec, s[10:11]
	s_and_saveexec_b64 s[10:11], vcc
	s_cbranch_execz .LBB0_12
; %bb.6:                                ;   in Loop: Header=BB0_3 Depth=1
	v_add_u32_e32 v15, 8, v14
	v_cmp_gt_u32_e64 s[8:9], s21, v15
	s_and_saveexec_b64 s[12:13], s[8:9]
	s_cbranch_execz .LBB0_8
; %bb.7:                                ;   in Loop: Header=BB0_3 Depth=1
	v_mad_u64_u32 v[16:17], s[8:9], s14, v15, 0
	v_mad_u64_u32 v[17:18], s[8:9], s15, v15, v[17:18]
	v_lshlrev_b64 v[15:16], 2, v[16:17]
	v_add_co_u32_e64 v15, s[8:9], v10, v15
	v_addc_co_u32_e64 v16, s[8:9], v11, v16, s[8:9]
	global_load_dword v15, v[15:16], off
	s_waitcnt vmcnt(0)
	ds_write_b32 v12, v15 offset:1024
.LBB0_8:                                ;   in Loop: Header=BB0_3 Depth=1
	s_or_b64 exec, exec, s[12:13]
	v_add_u32_e32 v15, 16, v14
	v_cmp_gt_u32_e64 s[8:9], s21, v15
	s_and_saveexec_b64 s[12:13], s[8:9]
	s_cbranch_execz .LBB0_10
; %bb.9:                                ;   in Loop: Header=BB0_3 Depth=1
	v_mad_u64_u32 v[16:17], s[8:9], s14, v15, 0
	v_mad_u64_u32 v[17:18], s[8:9], s15, v15, v[17:18]
	v_lshlrev_b64 v[15:16], 2, v[16:17]
	v_add_co_u32_e64 v15, s[8:9], v10, v15
	v_addc_co_u32_e64 v16, s[8:9], v11, v16, s[8:9]
	global_load_dword v15, v[15:16], off
	s_waitcnt vmcnt(0)
	ds_write_b32 v12, v15 offset:2048
.LBB0_10:                               ;   in Loop: Header=BB0_3 Depth=1
	s_or_b64 exec, exec, s[12:13]
	v_add_u32_e32 v14, 24, v14
	v_cmp_gt_u32_e64 s[8:9], s21, v14
	s_and_b64 exec, exec, s[8:9]
	s_cbranch_execz .LBB0_12
; %bb.11:                               ;   in Loop: Header=BB0_3 Depth=1
	v_mad_u64_u32 v[15:16], s[8:9], s14, v14, 0
	v_mad_u64_u32 v[16:17], s[8:9], s15, v14, v[16:17]
	v_lshlrev_b64 v[14:15], 2, v[15:16]
	v_add_co_u32_e64 v14, s[8:9], v10, v14
	v_addc_co_u32_e64 v15, s[8:9], v11, v15, s[8:9]
	global_load_dword v14, v[14:15], off
	s_waitcnt vmcnt(0)
	ds_write_b32 v12, v14 offset:3072
.LBB0_12:                               ;   in Loop: Header=BB0_3 Depth=1
	s_or_b64 exec, exec, s[10:11]
	v_add_u32_e32 v14, s18, v8
	v_ashrrev_i32_e32 v15, 31, v14
	v_cmp_le_i32_e64 s[8:9], s21, v14
	v_lshlrev_b64 v[14:15], 2, v[14:15]
	v_mov_b32_e32 v16, s17
	v_add_co_u32_e64 v14, s[10:11], s16, v14
	v_addc_co_u32_e64 v15, s[10:11], v16, v15, s[10:11]
	s_nor_b64 s[10:11], s[8:9], s[0:1]
	s_waitcnt lgkmcnt(0)
	s_barrier
	s_and_saveexec_b64 s[12:13], s[10:11]
	s_cbranch_execnz .LBB0_16
; %bb.13:                               ;   in Loop: Header=BB0_3 Depth=1
	s_or_b64 exec, exec, s[12:13]
	s_nor_b64 s[10:11], s[8:9], s[2:3]
	s_and_saveexec_b64 s[12:13], s[10:11]
	s_cbranch_execnz .LBB0_17
.LBB0_14:                               ;   in Loop: Header=BB0_3 Depth=1
	s_or_b64 exec, exec, s[12:13]
	s_nor_b64 s[10:11], s[8:9], s[4:5]
	s_and_saveexec_b64 s[12:13], s[10:11]
	s_cbranch_execnz .LBB0_18
.LBB0_15:                               ;   in Loop: Header=BB0_3 Depth=1
	s_or_b64 exec, exec, s[12:13]
	s_nor_b64 s[8:9], s[8:9], s[6:7]
	s_and_saveexec_b64 s[10:11], s[8:9]
	s_cbranch_execz .LBB0_2
	s_branch .LBB0_19
.LBB0_16:                               ;   in Loop: Header=BB0_3 Depth=1
	ds_read_b32 v18, v13
	v_add_co_u32_e64 v16, s[10:11], v14, v0
	v_addc_co_u32_e64 v17, s[10:11], v15, v1, s[10:11]
	s_waitcnt lgkmcnt(0)
	v_mul_f32_e32 v18, s22, v18
	global_store_dword v[16:17], v18, off
	s_or_b64 exec, exec, s[12:13]
	s_nor_b64 s[10:11], s[8:9], s[2:3]
	s_and_saveexec_b64 s[12:13], s[10:11]
	s_cbranch_execz .LBB0_14
.LBB0_17:                               ;   in Loop: Header=BB0_3 Depth=1
	ds_read_b32 v18, v13 offset:32
	v_add_co_u32_e64 v16, s[10:11], v14, v2
	v_addc_co_u32_e64 v17, s[10:11], v15, v3, s[10:11]
	s_waitcnt lgkmcnt(0)
	v_mul_f32_e32 v18, s22, v18
	global_store_dword v[16:17], v18, off
	s_or_b64 exec, exec, s[12:13]
	s_nor_b64 s[10:11], s[8:9], s[4:5]
	s_and_saveexec_b64 s[12:13], s[10:11]
	s_cbranch_execz .LBB0_15
.LBB0_18:                               ;   in Loop: Header=BB0_3 Depth=1
	ds_read_b32 v18, v13 offset:64
	v_add_co_u32_e64 v16, s[10:11], v14, v4
	v_addc_co_u32_e64 v17, s[10:11], v15, v5, s[10:11]
	s_waitcnt lgkmcnt(0)
	v_mul_f32_e32 v18, s22, v18
	global_store_dword v[16:17], v18, off
	s_or_b64 exec, exec, s[12:13]
	s_nor_b64 s[8:9], s[8:9], s[6:7]
	s_and_saveexec_b64 s[10:11], s[8:9]
	s_cbranch_execz .LBB0_2
.LBB0_19:                               ;   in Loop: Header=BB0_3 Depth=1
	ds_read_b32 v16, v13 offset:96
	v_add_co_u32_e64 v14, s[8:9], v14, v6
	v_addc_co_u32_e64 v15, s[8:9], v15, v7, s[8:9]
	s_waitcnt lgkmcnt(0)
	v_mul_f32_e32 v16, s22, v16
	global_store_dword v[14:15], v16, off
	s_branch .LBB0_2
.LBB0_20:
	s_endpgm
	.section	.rodata,"a",@progbits
	.p2align	6, 0x0
	.amdhsa_kernel _ZN9rocsparseL22dense_transpose_kernelILj32ELj8EiffEEvT1_S1_T3_PKT2_lPS3_l
		.amdhsa_group_segment_fixed_size 4096
		.amdhsa_private_segment_fixed_size 0
		.amdhsa_kernarg_size 48
		.amdhsa_user_sgpr_count 6
		.amdhsa_user_sgpr_private_segment_buffer 1
		.amdhsa_user_sgpr_dispatch_ptr 0
		.amdhsa_user_sgpr_queue_ptr 0
		.amdhsa_user_sgpr_kernarg_segment_ptr 1
		.amdhsa_user_sgpr_dispatch_id 0
		.amdhsa_user_sgpr_flat_scratch_init 0
		.amdhsa_user_sgpr_private_segment_size 0
		.amdhsa_uses_dynamic_stack 0
		.amdhsa_system_sgpr_private_segment_wavefront_offset 0
		.amdhsa_system_sgpr_workgroup_id_x 1
		.amdhsa_system_sgpr_workgroup_id_y 0
		.amdhsa_system_sgpr_workgroup_id_z 0
		.amdhsa_system_sgpr_workgroup_info 0
		.amdhsa_system_vgpr_workitem_id 0
		.amdhsa_next_free_vgpr 19
		.amdhsa_next_free_sgpr 24
		.amdhsa_reserve_vcc 1
		.amdhsa_reserve_flat_scratch 0
		.amdhsa_float_round_mode_32 0
		.amdhsa_float_round_mode_16_64 0
		.amdhsa_float_denorm_mode_32 3
		.amdhsa_float_denorm_mode_16_64 3
		.amdhsa_dx10_clamp 1
		.amdhsa_ieee_mode 1
		.amdhsa_fp16_overflow 0
		.amdhsa_exception_fp_ieee_invalid_op 0
		.amdhsa_exception_fp_denorm_src 0
		.amdhsa_exception_fp_ieee_div_zero 0
		.amdhsa_exception_fp_ieee_overflow 0
		.amdhsa_exception_fp_ieee_underflow 0
		.amdhsa_exception_fp_ieee_inexact 0
		.amdhsa_exception_int_div_zero 0
	.end_amdhsa_kernel
	.section	.text._ZN9rocsparseL22dense_transpose_kernelILj32ELj8EiffEEvT1_S1_T3_PKT2_lPS3_l,"axG",@progbits,_ZN9rocsparseL22dense_transpose_kernelILj32ELj8EiffEEvT1_S1_T3_PKT2_lPS3_l,comdat
.Lfunc_end0:
	.size	_ZN9rocsparseL22dense_transpose_kernelILj32ELj8EiffEEvT1_S1_T3_PKT2_lPS3_l, .Lfunc_end0-_ZN9rocsparseL22dense_transpose_kernelILj32ELj8EiffEEvT1_S1_T3_PKT2_lPS3_l
                                        ; -- End function
	.set _ZN9rocsparseL22dense_transpose_kernelILj32ELj8EiffEEvT1_S1_T3_PKT2_lPS3_l.num_vgpr, 19
	.set _ZN9rocsparseL22dense_transpose_kernelILj32ELj8EiffEEvT1_S1_T3_PKT2_lPS3_l.num_agpr, 0
	.set _ZN9rocsparseL22dense_transpose_kernelILj32ELj8EiffEEvT1_S1_T3_PKT2_lPS3_l.numbered_sgpr, 24
	.set _ZN9rocsparseL22dense_transpose_kernelILj32ELj8EiffEEvT1_S1_T3_PKT2_lPS3_l.num_named_barrier, 0
	.set _ZN9rocsparseL22dense_transpose_kernelILj32ELj8EiffEEvT1_S1_T3_PKT2_lPS3_l.private_seg_size, 0
	.set _ZN9rocsparseL22dense_transpose_kernelILj32ELj8EiffEEvT1_S1_T3_PKT2_lPS3_l.uses_vcc, 1
	.set _ZN9rocsparseL22dense_transpose_kernelILj32ELj8EiffEEvT1_S1_T3_PKT2_lPS3_l.uses_flat_scratch, 0
	.set _ZN9rocsparseL22dense_transpose_kernelILj32ELj8EiffEEvT1_S1_T3_PKT2_lPS3_l.has_dyn_sized_stack, 0
	.set _ZN9rocsparseL22dense_transpose_kernelILj32ELj8EiffEEvT1_S1_T3_PKT2_lPS3_l.has_recursion, 0
	.set _ZN9rocsparseL22dense_transpose_kernelILj32ELj8EiffEEvT1_S1_T3_PKT2_lPS3_l.has_indirect_call, 0
	.section	.AMDGPU.csdata,"",@progbits
; Kernel info:
; codeLenInByte = 988
; TotalNumSgprs: 28
; NumVgprs: 19
; ScratchSize: 0
; MemoryBound: 0
; FloatMode: 240
; IeeeMode: 1
; LDSByteSize: 4096 bytes/workgroup (compile time only)
; SGPRBlocks: 3
; VGPRBlocks: 4
; NumSGPRsForWavesPerEU: 28
; NumVGPRsForWavesPerEU: 19
; Occupancy: 10
; WaveLimiterHint : 0
; COMPUTE_PGM_RSRC2:SCRATCH_EN: 0
; COMPUTE_PGM_RSRC2:USER_SGPR: 6
; COMPUTE_PGM_RSRC2:TRAP_HANDLER: 0
; COMPUTE_PGM_RSRC2:TGID_X_EN: 1
; COMPUTE_PGM_RSRC2:TGID_Y_EN: 0
; COMPUTE_PGM_RSRC2:TGID_Z_EN: 0
; COMPUTE_PGM_RSRC2:TIDIG_COMP_CNT: 0
	.section	.text._ZN9rocsparseL22dense_transpose_kernelILj32ELj8EifPKfEEvT1_S3_T3_PKT2_lPS5_l,"axG",@progbits,_ZN9rocsparseL22dense_transpose_kernelILj32ELj8EifPKfEEvT1_S3_T3_PKT2_lPS5_l,comdat
	.globl	_ZN9rocsparseL22dense_transpose_kernelILj32ELj8EifPKfEEvT1_S3_T3_PKT2_lPS5_l ; -- Begin function _ZN9rocsparseL22dense_transpose_kernelILj32ELj8EifPKfEEvT1_S3_T3_PKT2_lPS5_l
	.p2align	8
	.type	_ZN9rocsparseL22dense_transpose_kernelILj32ELj8EifPKfEEvT1_S3_T3_PKT2_lPS5_l,@function
_ZN9rocsparseL22dense_transpose_kernelILj32ELj8EifPKfEEvT1_S3_T3_PKT2_lPS5_l: ; @_ZN9rocsparseL22dense_transpose_kernelILj32ELj8EifPKfEEvT1_S3_T3_PKT2_lPS5_l
; %bb.0:
	s_load_dwordx2 s[16:17], s[4:5], 0x0
	s_waitcnt lgkmcnt(0)
	s_cmp_lt_i32 s17, 1
	s_cbranch_scc1 .LBB1_20
; %bb.1:
	v_and_b32_e32 v8, 31, v0
	s_lshl_b32 s0, s6, 5
	s_load_dwordx8 s[8:15], s[4:5], 0x8
	s_load_dwordx2 s[18:19], s[4:5], 0x28
	v_lshrrev_b32_e32 v9, 5, v0
	v_or_b32_e32 v0, s0, v8
	v_ashrrev_i32_e32 v1, 31, v0
	v_cmp_gt_i32_e32 vcc, s16, v0
	v_lshlrev_b64 v[0:1], 2, v[0:1]
	v_or_b32_e32 v7, s0, v9
	s_waitcnt lgkmcnt(0)
	v_add_co_u32_e64 v10, s[0:1], s10, v0
	v_lshlrev_b32_e32 v0, 2, v8
	v_mov_b32_e32 v2, s11
	v_lshl_or_b32 v12, v9, 7, v0
	v_lshlrev_b32_e32 v0, 2, v9
	v_or_b32_e32 v14, 8, v7
	v_addc_co_u32_e64 v11, s[0:1], v2, v1, s[0:1]
	v_lshl_or_b32 v13, v8, 7, v0
	v_mad_u64_u32 v[0:1], s[0:1], s18, v7, 0
	v_mad_u64_u32 v[2:3], s[0:1], s18, v14, 0
	v_or_b32_e32 v17, 16, v7
	v_or_b32_e32 v18, 24, v7
	v_mad_u64_u32 v[4:5], s[0:1], s19, v7, v[1:2]
	v_mov_b32_e32 v1, v3
	v_mad_u64_u32 v[5:6], s[0:1], s19, v14, v[1:2]
	v_cmp_le_u32_e64 s[0:1], s16, v7
	v_mov_b32_e32 v1, v4
	v_mov_b32_e32 v3, v5
	v_mad_u64_u32 v[4:5], s[4:5], s18, v17, 0
	v_mad_u64_u32 v[6:7], s[4:5], s18, v18, 0
	v_cmp_le_u32_e64 s[2:3], s16, v14
	s_load_dword s20, s[8:9], 0x0
	v_mad_u64_u32 v[14:15], s[4:5], s19, v17, v[5:6]
	v_mov_b32_e32 v5, v7
	v_mad_u64_u32 v[15:16], s[4:5], s19, v18, v[5:6]
	v_mov_b32_e32 v5, v14
	v_lshlrev_b64 v[0:1], 2, v[0:1]
	v_mov_b32_e32 v7, v15
	v_lshlrev_b64 v[2:3], 2, v[2:3]
	v_lshlrev_b64 v[4:5], 2, v[4:5]
	;; [unrolled: 1-line block ×3, first 2 shown]
	v_cmp_le_u32_e64 s[4:5], s16, v17
	v_cmp_le_u32_e64 s[6:7], s16, v18
	s_mov_b32 s16, 0
	s_branch .LBB1_3
.LBB1_2:                                ;   in Loop: Header=BB1_3 Depth=1
	s_or_b64 exec, exec, s[10:11]
	s_add_i32 s16, s16, 32
	s_cmp_lt_i32 s16, s17
	s_cbranch_scc0 .LBB1_20
.LBB1_3:                                ; =>This Inner Loop Header: Depth=1
	v_add_u32_e32 v14, s16, v9
	v_cmp_gt_u32_e64 s[8:9], s17, v14
	s_and_b64 s[8:9], vcc, s[8:9]
	s_waitcnt vmcnt(0) lgkmcnt(0)
	s_barrier
	s_and_saveexec_b64 s[10:11], s[8:9]
	s_cbranch_execz .LBB1_5
; %bb.4:                                ;   in Loop: Header=BB1_3 Depth=1
	v_mad_u64_u32 v[15:16], s[8:9], s12, v14, 0
	v_mad_u64_u32 v[16:17], s[8:9], s13, v14, v[16:17]
	v_lshlrev_b64 v[15:16], 2, v[15:16]
	v_add_co_u32_e64 v15, s[8:9], v10, v15
	v_addc_co_u32_e64 v16, s[8:9], v11, v16, s[8:9]
	global_load_dword v15, v[15:16], off
	s_waitcnt vmcnt(0)
	ds_write_b32 v12, v15
.LBB1_5:                                ;   in Loop: Header=BB1_3 Depth=1
	s_or_b64 exec, exec, s[10:11]
	s_and_saveexec_b64 s[10:11], vcc
	s_cbranch_execz .LBB1_12
; %bb.6:                                ;   in Loop: Header=BB1_3 Depth=1
	v_add_u32_e32 v15, 8, v14
	v_cmp_gt_u32_e64 s[8:9], s17, v15
	s_and_saveexec_b64 s[18:19], s[8:9]
	s_cbranch_execz .LBB1_8
; %bb.7:                                ;   in Loop: Header=BB1_3 Depth=1
	v_mad_u64_u32 v[16:17], s[8:9], s12, v15, 0
	v_mad_u64_u32 v[17:18], s[8:9], s13, v15, v[17:18]
	v_lshlrev_b64 v[15:16], 2, v[16:17]
	v_add_co_u32_e64 v15, s[8:9], v10, v15
	v_addc_co_u32_e64 v16, s[8:9], v11, v16, s[8:9]
	global_load_dword v15, v[15:16], off
	s_waitcnt vmcnt(0)
	ds_write_b32 v12, v15 offset:1024
.LBB1_8:                                ;   in Loop: Header=BB1_3 Depth=1
	s_or_b64 exec, exec, s[18:19]
	v_add_u32_e32 v15, 16, v14
	v_cmp_gt_u32_e64 s[8:9], s17, v15
	s_and_saveexec_b64 s[18:19], s[8:9]
	s_cbranch_execz .LBB1_10
; %bb.9:                                ;   in Loop: Header=BB1_3 Depth=1
	v_mad_u64_u32 v[16:17], s[8:9], s12, v15, 0
	v_mad_u64_u32 v[17:18], s[8:9], s13, v15, v[17:18]
	v_lshlrev_b64 v[15:16], 2, v[16:17]
	v_add_co_u32_e64 v15, s[8:9], v10, v15
	v_addc_co_u32_e64 v16, s[8:9], v11, v16, s[8:9]
	global_load_dword v15, v[15:16], off
	s_waitcnt vmcnt(0)
	ds_write_b32 v12, v15 offset:2048
.LBB1_10:                               ;   in Loop: Header=BB1_3 Depth=1
	s_or_b64 exec, exec, s[18:19]
	v_add_u32_e32 v14, 24, v14
	v_cmp_gt_u32_e64 s[8:9], s17, v14
	s_and_b64 exec, exec, s[8:9]
	s_cbranch_execz .LBB1_12
; %bb.11:                               ;   in Loop: Header=BB1_3 Depth=1
	v_mad_u64_u32 v[15:16], s[8:9], s12, v14, 0
	v_mad_u64_u32 v[16:17], s[8:9], s13, v14, v[16:17]
	v_lshlrev_b64 v[14:15], 2, v[15:16]
	v_add_co_u32_e64 v14, s[8:9], v10, v14
	v_addc_co_u32_e64 v15, s[8:9], v11, v15, s[8:9]
	global_load_dword v14, v[14:15], off
	s_waitcnt vmcnt(0)
	ds_write_b32 v12, v14 offset:3072
.LBB1_12:                               ;   in Loop: Header=BB1_3 Depth=1
	s_or_b64 exec, exec, s[10:11]
	v_add_u32_e32 v14, s16, v8
	v_ashrrev_i32_e32 v15, 31, v14
	v_cmp_le_i32_e64 s[8:9], s17, v14
	v_lshlrev_b64 v[14:15], 2, v[14:15]
	v_mov_b32_e32 v16, s15
	v_add_co_u32_e64 v14, s[10:11], s14, v14
	v_addc_co_u32_e64 v15, s[10:11], v16, v15, s[10:11]
	s_nor_b64 s[10:11], s[8:9], s[0:1]
	s_waitcnt lgkmcnt(0)
	s_barrier
	s_and_saveexec_b64 s[18:19], s[10:11]
	s_cbranch_execnz .LBB1_16
; %bb.13:                               ;   in Loop: Header=BB1_3 Depth=1
	s_or_b64 exec, exec, s[18:19]
	s_nor_b64 s[10:11], s[8:9], s[2:3]
	s_and_saveexec_b64 s[18:19], s[10:11]
	s_cbranch_execnz .LBB1_17
.LBB1_14:                               ;   in Loop: Header=BB1_3 Depth=1
	s_or_b64 exec, exec, s[18:19]
	s_nor_b64 s[10:11], s[8:9], s[4:5]
	s_and_saveexec_b64 s[18:19], s[10:11]
	s_cbranch_execnz .LBB1_18
.LBB1_15:                               ;   in Loop: Header=BB1_3 Depth=1
	s_or_b64 exec, exec, s[18:19]
	s_nor_b64 s[8:9], s[8:9], s[6:7]
	s_and_saveexec_b64 s[10:11], s[8:9]
	s_cbranch_execz .LBB1_2
	s_branch .LBB1_19
.LBB1_16:                               ;   in Loop: Header=BB1_3 Depth=1
	ds_read_b32 v18, v13
	v_add_co_u32_e64 v16, s[10:11], v14, v0
	v_addc_co_u32_e64 v17, s[10:11], v15, v1, s[10:11]
	s_waitcnt lgkmcnt(0)
	v_mul_f32_e32 v18, s20, v18
	global_store_dword v[16:17], v18, off
	s_or_b64 exec, exec, s[18:19]
	s_nor_b64 s[10:11], s[8:9], s[2:3]
	s_and_saveexec_b64 s[18:19], s[10:11]
	s_cbranch_execz .LBB1_14
.LBB1_17:                               ;   in Loop: Header=BB1_3 Depth=1
	ds_read_b32 v18, v13 offset:32
	v_add_co_u32_e64 v16, s[10:11], v14, v2
	v_addc_co_u32_e64 v17, s[10:11], v15, v3, s[10:11]
	s_waitcnt lgkmcnt(0)
	v_mul_f32_e32 v18, s20, v18
	global_store_dword v[16:17], v18, off
	s_or_b64 exec, exec, s[18:19]
	s_nor_b64 s[10:11], s[8:9], s[4:5]
	s_and_saveexec_b64 s[18:19], s[10:11]
	s_cbranch_execz .LBB1_15
.LBB1_18:                               ;   in Loop: Header=BB1_3 Depth=1
	ds_read_b32 v18, v13 offset:64
	v_add_co_u32_e64 v16, s[10:11], v14, v4
	v_addc_co_u32_e64 v17, s[10:11], v15, v5, s[10:11]
	s_waitcnt lgkmcnt(0)
	v_mul_f32_e32 v18, s20, v18
	global_store_dword v[16:17], v18, off
	s_or_b64 exec, exec, s[18:19]
	s_nor_b64 s[8:9], s[8:9], s[6:7]
	s_and_saveexec_b64 s[10:11], s[8:9]
	s_cbranch_execz .LBB1_2
.LBB1_19:                               ;   in Loop: Header=BB1_3 Depth=1
	ds_read_b32 v16, v13 offset:96
	v_add_co_u32_e64 v14, s[8:9], v14, v6
	v_addc_co_u32_e64 v15, s[8:9], v15, v7, s[8:9]
	s_waitcnt lgkmcnt(0)
	v_mul_f32_e32 v16, s20, v16
	global_store_dword v[14:15], v16, off
	s_branch .LBB1_2
.LBB1_20:
	s_endpgm
	.section	.rodata,"a",@progbits
	.p2align	6, 0x0
	.amdhsa_kernel _ZN9rocsparseL22dense_transpose_kernelILj32ELj8EifPKfEEvT1_S3_T3_PKT2_lPS5_l
		.amdhsa_group_segment_fixed_size 4096
		.amdhsa_private_segment_fixed_size 0
		.amdhsa_kernarg_size 48
		.amdhsa_user_sgpr_count 6
		.amdhsa_user_sgpr_private_segment_buffer 1
		.amdhsa_user_sgpr_dispatch_ptr 0
		.amdhsa_user_sgpr_queue_ptr 0
		.amdhsa_user_sgpr_kernarg_segment_ptr 1
		.amdhsa_user_sgpr_dispatch_id 0
		.amdhsa_user_sgpr_flat_scratch_init 0
		.amdhsa_user_sgpr_private_segment_size 0
		.amdhsa_uses_dynamic_stack 0
		.amdhsa_system_sgpr_private_segment_wavefront_offset 0
		.amdhsa_system_sgpr_workgroup_id_x 1
		.amdhsa_system_sgpr_workgroup_id_y 0
		.amdhsa_system_sgpr_workgroup_id_z 0
		.amdhsa_system_sgpr_workgroup_info 0
		.amdhsa_system_vgpr_workitem_id 0
		.amdhsa_next_free_vgpr 19
		.amdhsa_next_free_sgpr 21
		.amdhsa_reserve_vcc 1
		.amdhsa_reserve_flat_scratch 0
		.amdhsa_float_round_mode_32 0
		.amdhsa_float_round_mode_16_64 0
		.amdhsa_float_denorm_mode_32 3
		.amdhsa_float_denorm_mode_16_64 3
		.amdhsa_dx10_clamp 1
		.amdhsa_ieee_mode 1
		.amdhsa_fp16_overflow 0
		.amdhsa_exception_fp_ieee_invalid_op 0
		.amdhsa_exception_fp_denorm_src 0
		.amdhsa_exception_fp_ieee_div_zero 0
		.amdhsa_exception_fp_ieee_overflow 0
		.amdhsa_exception_fp_ieee_underflow 0
		.amdhsa_exception_fp_ieee_inexact 0
		.amdhsa_exception_int_div_zero 0
	.end_amdhsa_kernel
	.section	.text._ZN9rocsparseL22dense_transpose_kernelILj32ELj8EifPKfEEvT1_S3_T3_PKT2_lPS5_l,"axG",@progbits,_ZN9rocsparseL22dense_transpose_kernelILj32ELj8EifPKfEEvT1_S3_T3_PKT2_lPS5_l,comdat
.Lfunc_end1:
	.size	_ZN9rocsparseL22dense_transpose_kernelILj32ELj8EifPKfEEvT1_S3_T3_PKT2_lPS5_l, .Lfunc_end1-_ZN9rocsparseL22dense_transpose_kernelILj32ELj8EifPKfEEvT1_S3_T3_PKT2_lPS5_l
                                        ; -- End function
	.set _ZN9rocsparseL22dense_transpose_kernelILj32ELj8EifPKfEEvT1_S3_T3_PKT2_lPS5_l.num_vgpr, 19
	.set _ZN9rocsparseL22dense_transpose_kernelILj32ELj8EifPKfEEvT1_S3_T3_PKT2_lPS5_l.num_agpr, 0
	.set _ZN9rocsparseL22dense_transpose_kernelILj32ELj8EifPKfEEvT1_S3_T3_PKT2_lPS5_l.numbered_sgpr, 21
	.set _ZN9rocsparseL22dense_transpose_kernelILj32ELj8EifPKfEEvT1_S3_T3_PKT2_lPS5_l.num_named_barrier, 0
	.set _ZN9rocsparseL22dense_transpose_kernelILj32ELj8EifPKfEEvT1_S3_T3_PKT2_lPS5_l.private_seg_size, 0
	.set _ZN9rocsparseL22dense_transpose_kernelILj32ELj8EifPKfEEvT1_S3_T3_PKT2_lPS5_l.uses_vcc, 1
	.set _ZN9rocsparseL22dense_transpose_kernelILj32ELj8EifPKfEEvT1_S3_T3_PKT2_lPS5_l.uses_flat_scratch, 0
	.set _ZN9rocsparseL22dense_transpose_kernelILj32ELj8EifPKfEEvT1_S3_T3_PKT2_lPS5_l.has_dyn_sized_stack, 0
	.set _ZN9rocsparseL22dense_transpose_kernelILj32ELj8EifPKfEEvT1_S3_T3_PKT2_lPS5_l.has_recursion, 0
	.set _ZN9rocsparseL22dense_transpose_kernelILj32ELj8EifPKfEEvT1_S3_T3_PKT2_lPS5_l.has_indirect_call, 0
	.section	.AMDGPU.csdata,"",@progbits
; Kernel info:
; codeLenInByte = 1004
; TotalNumSgprs: 25
; NumVgprs: 19
; ScratchSize: 0
; MemoryBound: 0
; FloatMode: 240
; IeeeMode: 1
; LDSByteSize: 4096 bytes/workgroup (compile time only)
; SGPRBlocks: 3
; VGPRBlocks: 4
; NumSGPRsForWavesPerEU: 25
; NumVGPRsForWavesPerEU: 19
; Occupancy: 10
; WaveLimiterHint : 0
; COMPUTE_PGM_RSRC2:SCRATCH_EN: 0
; COMPUTE_PGM_RSRC2:USER_SGPR: 6
; COMPUTE_PGM_RSRC2:TRAP_HANDLER: 0
; COMPUTE_PGM_RSRC2:TGID_X_EN: 1
; COMPUTE_PGM_RSRC2:TGID_Y_EN: 0
; COMPUTE_PGM_RSRC2:TGID_Z_EN: 0
; COMPUTE_PGM_RSRC2:TIDIG_COMP_CNT: 0
	.section	.text._ZN9rocsparseL22dense_transpose_kernelILj32ELj8EiddEEvT1_S1_T3_PKT2_lPS3_l,"axG",@progbits,_ZN9rocsparseL22dense_transpose_kernelILj32ELj8EiddEEvT1_S1_T3_PKT2_lPS3_l,comdat
	.globl	_ZN9rocsparseL22dense_transpose_kernelILj32ELj8EiddEEvT1_S1_T3_PKT2_lPS3_l ; -- Begin function _ZN9rocsparseL22dense_transpose_kernelILj32ELj8EiddEEvT1_S1_T3_PKT2_lPS3_l
	.p2align	8
	.type	_ZN9rocsparseL22dense_transpose_kernelILj32ELj8EiddEEvT1_S1_T3_PKT2_lPS3_l,@function
_ZN9rocsparseL22dense_transpose_kernelILj32ELj8EiddEEvT1_S1_T3_PKT2_lPS3_l: ; @_ZN9rocsparseL22dense_transpose_kernelILj32ELj8EiddEEvT1_S1_T3_PKT2_lPS3_l
; %bb.0:
	s_load_dwordx2 s[20:21], s[4:5], 0x0
	s_waitcnt lgkmcnt(0)
	s_cmp_lt_i32 s21, 1
	s_cbranch_scc1 .LBB2_20
; %bb.1:
	v_and_b32_e32 v8, 31, v0
	s_lshl_b32 s0, s6, 5
	s_load_dwordx8 s[12:19], s[4:5], 0x8
	s_load_dwordx2 s[8:9], s[4:5], 0x28
	v_lshrrev_b32_e32 v9, 5, v0
	v_or_b32_e32 v0, s0, v8
	v_ashrrev_i32_e32 v1, 31, v0
	v_cmp_gt_i32_e32 vcc, s20, v0
	v_lshlrev_b64 v[0:1], 3, v[0:1]
	v_or_b32_e32 v7, s0, v9
	s_waitcnt lgkmcnt(0)
	v_add_co_u32_e64 v10, s[0:1], s14, v0
	v_lshlrev_b32_e32 v0, 3, v8
	v_mov_b32_e32 v2, s15
	v_lshl_or_b32 v12, v9, 8, v0
	v_lshlrev_b32_e32 v0, 3, v9
	v_or_b32_e32 v14, 8, v7
	v_addc_co_u32_e64 v11, s[0:1], v2, v1, s[0:1]
	v_lshl_or_b32 v13, v8, 8, v0
	v_mad_u64_u32 v[0:1], s[0:1], s8, v7, 0
	v_mad_u64_u32 v[2:3], s[0:1], s8, v14, 0
	v_or_b32_e32 v17, 16, v7
	v_or_b32_e32 v18, 24, v7
	v_mad_u64_u32 v[4:5], s[0:1], s9, v7, v[1:2]
	v_mov_b32_e32 v1, v3
	v_mad_u64_u32 v[5:6], s[0:1], s9, v14, v[1:2]
	v_cmp_le_u32_e64 s[0:1], s20, v7
	v_mov_b32_e32 v1, v4
	v_mov_b32_e32 v3, v5
	v_mad_u64_u32 v[4:5], s[4:5], s8, v17, 0
	v_mad_u64_u32 v[6:7], s[4:5], s8, v18, 0
	v_cmp_le_u32_e64 s[2:3], s20, v14
	v_lshlrev_b64 v[0:1], 3, v[0:1]
	v_mad_u64_u32 v[14:15], s[4:5], s9, v17, v[5:6]
	v_mov_b32_e32 v5, v7
	v_mad_u64_u32 v[15:16], s[4:5], s9, v18, v[5:6]
	v_mov_b32_e32 v5, v14
	v_lshlrev_b64 v[2:3], 3, v[2:3]
	v_mov_b32_e32 v7, v15
	v_lshlrev_b64 v[4:5], 3, v[4:5]
	v_lshlrev_b64 v[6:7], 3, v[6:7]
	v_cmp_le_u32_e64 s[4:5], s20, v17
	v_cmp_le_u32_e64 s[6:7], s20, v18
	s_mov_b32 s20, 0
	v_mov_b32_e32 v14, s19
	s_branch .LBB2_3
.LBB2_2:                                ;   in Loop: Header=BB2_3 Depth=1
	s_or_b64 exec, exec, s[10:11]
	s_add_i32 s20, s20, 32
	s_cmp_lt_i32 s20, s21
	s_cbranch_scc0 .LBB2_20
.LBB2_3:                                ; =>This Inner Loop Header: Depth=1
	v_add_u32_e32 v15, s20, v9
	v_cmp_gt_u32_e64 s[8:9], s21, v15
	s_and_b64 s[8:9], vcc, s[8:9]
	s_waitcnt vmcnt(0)
	s_barrier
	s_and_saveexec_b64 s[10:11], s[8:9]
	s_cbranch_execz .LBB2_5
; %bb.4:                                ;   in Loop: Header=BB2_3 Depth=1
	v_mad_u64_u32 v[16:17], s[8:9], s16, v15, 0
	v_mad_u64_u32 v[17:18], s[8:9], s17, v15, v[17:18]
	v_lshlrev_b64 v[16:17], 3, v[16:17]
	v_add_co_u32_e64 v16, s[8:9], v10, v16
	v_addc_co_u32_e64 v17, s[8:9], v11, v17, s[8:9]
	global_load_dwordx2 v[16:17], v[16:17], off
	s_waitcnt vmcnt(0)
	ds_write_b64 v12, v[16:17]
.LBB2_5:                                ;   in Loop: Header=BB2_3 Depth=1
	s_or_b64 exec, exec, s[10:11]
	s_and_saveexec_b64 s[10:11], vcc
	s_cbranch_execz .LBB2_12
; %bb.6:                                ;   in Loop: Header=BB2_3 Depth=1
	v_add_u32_e32 v16, 8, v15
	v_cmp_gt_u32_e64 s[8:9], s21, v16
	s_and_saveexec_b64 s[14:15], s[8:9]
	s_cbranch_execz .LBB2_8
; %bb.7:                                ;   in Loop: Header=BB2_3 Depth=1
	v_mad_u64_u32 v[17:18], s[8:9], s16, v16, 0
	v_mad_u64_u32 v[18:19], s[8:9], s17, v16, v[18:19]
	v_lshlrev_b64 v[16:17], 3, v[17:18]
	v_add_co_u32_e64 v16, s[8:9], v10, v16
	v_addc_co_u32_e64 v17, s[8:9], v11, v17, s[8:9]
	global_load_dwordx2 v[16:17], v[16:17], off
	s_waitcnt vmcnt(0)
	ds_write_b64 v12, v[16:17] offset:2048
.LBB2_8:                                ;   in Loop: Header=BB2_3 Depth=1
	s_or_b64 exec, exec, s[14:15]
	v_add_u32_e32 v16, 16, v15
	v_cmp_gt_u32_e64 s[8:9], s21, v16
	s_and_saveexec_b64 s[14:15], s[8:9]
	s_cbranch_execz .LBB2_10
; %bb.9:                                ;   in Loop: Header=BB2_3 Depth=1
	v_mad_u64_u32 v[17:18], s[8:9], s16, v16, 0
	v_mad_u64_u32 v[18:19], s[8:9], s17, v16, v[18:19]
	v_lshlrev_b64 v[16:17], 3, v[17:18]
	v_add_co_u32_e64 v16, s[8:9], v10, v16
	v_addc_co_u32_e64 v17, s[8:9], v11, v17, s[8:9]
	global_load_dwordx2 v[16:17], v[16:17], off
	s_waitcnt vmcnt(0)
	ds_write_b64 v12, v[16:17] offset:4096
.LBB2_10:                               ;   in Loop: Header=BB2_3 Depth=1
	s_or_b64 exec, exec, s[14:15]
	v_add_u32_e32 v15, 24, v15
	v_cmp_gt_u32_e64 s[8:9], s21, v15
	s_and_b64 exec, exec, s[8:9]
	s_cbranch_execz .LBB2_12
; %bb.11:                               ;   in Loop: Header=BB2_3 Depth=1
	v_mad_u64_u32 v[16:17], s[8:9], s16, v15, 0
	v_mad_u64_u32 v[17:18], s[8:9], s17, v15, v[17:18]
	v_lshlrev_b64 v[15:16], 3, v[16:17]
	v_add_co_u32_e64 v15, s[8:9], v10, v15
	v_addc_co_u32_e64 v16, s[8:9], v11, v16, s[8:9]
	global_load_dwordx2 v[15:16], v[15:16], off
	s_waitcnt vmcnt(0)
	ds_write_b64 v12, v[15:16] offset:6144
.LBB2_12:                               ;   in Loop: Header=BB2_3 Depth=1
	s_or_b64 exec, exec, s[10:11]
	v_add_u32_e32 v15, s20, v8
	v_ashrrev_i32_e32 v16, 31, v15
	v_cmp_le_i32_e64 s[8:9], s21, v15
	v_lshlrev_b64 v[15:16], 3, v[15:16]
	s_waitcnt lgkmcnt(0)
	v_add_co_u32_e64 v15, s[10:11], s18, v15
	v_addc_co_u32_e64 v16, s[10:11], v14, v16, s[10:11]
	s_nor_b64 s[10:11], s[8:9], s[0:1]
	s_barrier
	s_and_saveexec_b64 s[14:15], s[10:11]
	s_cbranch_execnz .LBB2_16
; %bb.13:                               ;   in Loop: Header=BB2_3 Depth=1
	s_or_b64 exec, exec, s[14:15]
	s_nor_b64 s[10:11], s[8:9], s[2:3]
	s_and_saveexec_b64 s[14:15], s[10:11]
	s_cbranch_execnz .LBB2_17
.LBB2_14:                               ;   in Loop: Header=BB2_3 Depth=1
	s_or_b64 exec, exec, s[14:15]
	s_nor_b64 s[10:11], s[8:9], s[4:5]
	s_and_saveexec_b64 s[14:15], s[10:11]
	s_cbranch_execnz .LBB2_18
.LBB2_15:                               ;   in Loop: Header=BB2_3 Depth=1
	s_or_b64 exec, exec, s[14:15]
	s_nor_b64 s[8:9], s[8:9], s[6:7]
	s_and_saveexec_b64 s[10:11], s[8:9]
	s_cbranch_execz .LBB2_2
	s_branch .LBB2_19
.LBB2_16:                               ;   in Loop: Header=BB2_3 Depth=1
	ds_read_b64 v[17:18], v13
	v_add_co_u32_e64 v19, s[10:11], v15, v0
	v_addc_co_u32_e64 v20, s[10:11], v16, v1, s[10:11]
	s_waitcnt lgkmcnt(0)
	v_mul_f64 v[17:18], s[12:13], v[17:18]
	global_store_dwordx2 v[19:20], v[17:18], off
	s_or_b64 exec, exec, s[14:15]
	s_nor_b64 s[10:11], s[8:9], s[2:3]
	s_and_saveexec_b64 s[14:15], s[10:11]
	s_cbranch_execz .LBB2_14
.LBB2_17:                               ;   in Loop: Header=BB2_3 Depth=1
	ds_read_b64 v[17:18], v13 offset:64
	v_add_co_u32_e64 v19, s[10:11], v15, v2
	v_addc_co_u32_e64 v20, s[10:11], v16, v3, s[10:11]
	s_waitcnt lgkmcnt(0)
	v_mul_f64 v[17:18], s[12:13], v[17:18]
	global_store_dwordx2 v[19:20], v[17:18], off
	s_or_b64 exec, exec, s[14:15]
	s_nor_b64 s[10:11], s[8:9], s[4:5]
	s_and_saveexec_b64 s[14:15], s[10:11]
	s_cbranch_execz .LBB2_15
.LBB2_18:                               ;   in Loop: Header=BB2_3 Depth=1
	ds_read_b64 v[17:18], v13 offset:128
	v_add_co_u32_e64 v19, s[10:11], v15, v4
	v_addc_co_u32_e64 v20, s[10:11], v16, v5, s[10:11]
	s_waitcnt lgkmcnt(0)
	v_mul_f64 v[17:18], s[12:13], v[17:18]
	global_store_dwordx2 v[19:20], v[17:18], off
	s_or_b64 exec, exec, s[14:15]
	s_nor_b64 s[8:9], s[8:9], s[6:7]
	s_and_saveexec_b64 s[10:11], s[8:9]
	s_cbranch_execz .LBB2_2
.LBB2_19:                               ;   in Loop: Header=BB2_3 Depth=1
	ds_read_b64 v[17:18], v13 offset:192
	v_add_co_u32_e64 v15, s[8:9], v15, v6
	v_addc_co_u32_e64 v16, s[8:9], v16, v7, s[8:9]
	s_waitcnt lgkmcnt(0)
	v_mul_f64 v[17:18], s[12:13], v[17:18]
	global_store_dwordx2 v[15:16], v[17:18], off
	s_branch .LBB2_2
.LBB2_20:
	s_endpgm
	.section	.rodata,"a",@progbits
	.p2align	6, 0x0
	.amdhsa_kernel _ZN9rocsparseL22dense_transpose_kernelILj32ELj8EiddEEvT1_S1_T3_PKT2_lPS3_l
		.amdhsa_group_segment_fixed_size 8192
		.amdhsa_private_segment_fixed_size 0
		.amdhsa_kernarg_size 48
		.amdhsa_user_sgpr_count 6
		.amdhsa_user_sgpr_private_segment_buffer 1
		.amdhsa_user_sgpr_dispatch_ptr 0
		.amdhsa_user_sgpr_queue_ptr 0
		.amdhsa_user_sgpr_kernarg_segment_ptr 1
		.amdhsa_user_sgpr_dispatch_id 0
		.amdhsa_user_sgpr_flat_scratch_init 0
		.amdhsa_user_sgpr_private_segment_size 0
		.amdhsa_uses_dynamic_stack 0
		.amdhsa_system_sgpr_private_segment_wavefront_offset 0
		.amdhsa_system_sgpr_workgroup_id_x 1
		.amdhsa_system_sgpr_workgroup_id_y 0
		.amdhsa_system_sgpr_workgroup_id_z 0
		.amdhsa_system_sgpr_workgroup_info 0
		.amdhsa_system_vgpr_workitem_id 0
		.amdhsa_next_free_vgpr 29
		.amdhsa_next_free_sgpr 61
		.amdhsa_reserve_vcc 1
		.amdhsa_reserve_flat_scratch 0
		.amdhsa_float_round_mode_32 0
		.amdhsa_float_round_mode_16_64 0
		.amdhsa_float_denorm_mode_32 3
		.amdhsa_float_denorm_mode_16_64 3
		.amdhsa_dx10_clamp 1
		.amdhsa_ieee_mode 1
		.amdhsa_fp16_overflow 0
		.amdhsa_exception_fp_ieee_invalid_op 0
		.amdhsa_exception_fp_denorm_src 0
		.amdhsa_exception_fp_ieee_div_zero 0
		.amdhsa_exception_fp_ieee_overflow 0
		.amdhsa_exception_fp_ieee_underflow 0
		.amdhsa_exception_fp_ieee_inexact 0
		.amdhsa_exception_int_div_zero 0
	.end_amdhsa_kernel
	.section	.text._ZN9rocsparseL22dense_transpose_kernelILj32ELj8EiddEEvT1_S1_T3_PKT2_lPS3_l,"axG",@progbits,_ZN9rocsparseL22dense_transpose_kernelILj32ELj8EiddEEvT1_S1_T3_PKT2_lPS3_l,comdat
.Lfunc_end2:
	.size	_ZN9rocsparseL22dense_transpose_kernelILj32ELj8EiddEEvT1_S1_T3_PKT2_lPS3_l, .Lfunc_end2-_ZN9rocsparseL22dense_transpose_kernelILj32ELj8EiddEEvT1_S1_T3_PKT2_lPS3_l
                                        ; -- End function
	.set _ZN9rocsparseL22dense_transpose_kernelILj32ELj8EiddEEvT1_S1_T3_PKT2_lPS3_l.num_vgpr, 21
	.set _ZN9rocsparseL22dense_transpose_kernelILj32ELj8EiddEEvT1_S1_T3_PKT2_lPS3_l.num_agpr, 0
	.set _ZN9rocsparseL22dense_transpose_kernelILj32ELj8EiddEEvT1_S1_T3_PKT2_lPS3_l.numbered_sgpr, 22
	.set _ZN9rocsparseL22dense_transpose_kernelILj32ELj8EiddEEvT1_S1_T3_PKT2_lPS3_l.num_named_barrier, 0
	.set _ZN9rocsparseL22dense_transpose_kernelILj32ELj8EiddEEvT1_S1_T3_PKT2_lPS3_l.private_seg_size, 0
	.set _ZN9rocsparseL22dense_transpose_kernelILj32ELj8EiddEEvT1_S1_T3_PKT2_lPS3_l.uses_vcc, 1
	.set _ZN9rocsparseL22dense_transpose_kernelILj32ELj8EiddEEvT1_S1_T3_PKT2_lPS3_l.uses_flat_scratch, 0
	.set _ZN9rocsparseL22dense_transpose_kernelILj32ELj8EiddEEvT1_S1_T3_PKT2_lPS3_l.has_dyn_sized_stack, 0
	.set _ZN9rocsparseL22dense_transpose_kernelILj32ELj8EiddEEvT1_S1_T3_PKT2_lPS3_l.has_recursion, 0
	.set _ZN9rocsparseL22dense_transpose_kernelILj32ELj8EiddEEvT1_S1_T3_PKT2_lPS3_l.has_indirect_call, 0
	.section	.AMDGPU.csdata,"",@progbits
; Kernel info:
; codeLenInByte = 1012
; TotalNumSgprs: 26
; NumVgprs: 21
; ScratchSize: 0
; MemoryBound: 0
; FloatMode: 240
; IeeeMode: 1
; LDSByteSize: 8192 bytes/workgroup (compile time only)
; SGPRBlocks: 8
; VGPRBlocks: 7
; NumSGPRsForWavesPerEU: 65
; NumVGPRsForWavesPerEU: 29
; Occupancy: 8
; WaveLimiterHint : 0
; COMPUTE_PGM_RSRC2:SCRATCH_EN: 0
; COMPUTE_PGM_RSRC2:USER_SGPR: 6
; COMPUTE_PGM_RSRC2:TRAP_HANDLER: 0
; COMPUTE_PGM_RSRC2:TGID_X_EN: 1
; COMPUTE_PGM_RSRC2:TGID_Y_EN: 0
; COMPUTE_PGM_RSRC2:TGID_Z_EN: 0
; COMPUTE_PGM_RSRC2:TIDIG_COMP_CNT: 0
	.section	.text._ZN9rocsparseL22dense_transpose_kernelILj32ELj8EidPKdEEvT1_S3_T3_PKT2_lPS5_l,"axG",@progbits,_ZN9rocsparseL22dense_transpose_kernelILj32ELj8EidPKdEEvT1_S3_T3_PKT2_lPS5_l,comdat
	.globl	_ZN9rocsparseL22dense_transpose_kernelILj32ELj8EidPKdEEvT1_S3_T3_PKT2_lPS5_l ; -- Begin function _ZN9rocsparseL22dense_transpose_kernelILj32ELj8EidPKdEEvT1_S3_T3_PKT2_lPS5_l
	.p2align	8
	.type	_ZN9rocsparseL22dense_transpose_kernelILj32ELj8EidPKdEEvT1_S3_T3_PKT2_lPS5_l,@function
_ZN9rocsparseL22dense_transpose_kernelILj32ELj8EidPKdEEvT1_S3_T3_PKT2_lPS5_l: ; @_ZN9rocsparseL22dense_transpose_kernelILj32ELj8EidPKdEEvT1_S3_T3_PKT2_lPS5_l
; %bb.0:
	s_load_dwordx2 s[16:17], s[4:5], 0x0
	s_waitcnt lgkmcnt(0)
	s_cmp_lt_i32 s17, 1
	s_cbranch_scc1 .LBB3_20
; %bb.1:
	v_and_b32_e32 v8, 31, v0
	s_lshl_b32 s0, s6, 5
	s_load_dwordx8 s[8:15], s[4:5], 0x8
	s_load_dwordx2 s[20:21], s[4:5], 0x28
	v_lshrrev_b32_e32 v9, 5, v0
	v_or_b32_e32 v0, s0, v8
	v_ashrrev_i32_e32 v1, 31, v0
	v_cmp_gt_i32_e32 vcc, s16, v0
	v_lshlrev_b64 v[0:1], 3, v[0:1]
	v_or_b32_e32 v7, s0, v9
	s_waitcnt lgkmcnt(0)
	v_add_co_u32_e64 v10, s[0:1], s10, v0
	v_lshlrev_b32_e32 v0, 3, v8
	v_mov_b32_e32 v2, s11
	v_lshl_or_b32 v12, v9, 8, v0
	v_lshlrev_b32_e32 v0, 3, v9
	v_or_b32_e32 v14, 8, v7
	v_addc_co_u32_e64 v11, s[0:1], v2, v1, s[0:1]
	v_lshl_or_b32 v13, v8, 8, v0
	v_mad_u64_u32 v[0:1], s[0:1], s20, v7, 0
	v_mad_u64_u32 v[2:3], s[0:1], s20, v14, 0
	v_or_b32_e32 v17, 16, v7
	v_or_b32_e32 v18, 24, v7
	v_mad_u64_u32 v[4:5], s[0:1], s21, v7, v[1:2]
	v_mov_b32_e32 v1, v3
	v_mad_u64_u32 v[5:6], s[0:1], s21, v14, v[1:2]
	v_cmp_le_u32_e64 s[0:1], s16, v7
	v_mov_b32_e32 v1, v4
	v_mov_b32_e32 v3, v5
	v_mad_u64_u32 v[4:5], s[4:5], s20, v17, 0
	v_mad_u64_u32 v[6:7], s[4:5], s20, v18, 0
	v_cmp_le_u32_e64 s[2:3], s16, v14
	s_load_dwordx2 s[18:19], s[8:9], 0x0
	v_mad_u64_u32 v[14:15], s[4:5], s21, v17, v[5:6]
	v_mov_b32_e32 v5, v7
	v_mad_u64_u32 v[15:16], s[4:5], s21, v18, v[5:6]
	v_mov_b32_e32 v5, v14
	v_lshlrev_b64 v[0:1], 3, v[0:1]
	v_mov_b32_e32 v7, v15
	v_lshlrev_b64 v[2:3], 3, v[2:3]
	v_lshlrev_b64 v[4:5], 3, v[4:5]
	;; [unrolled: 1-line block ×3, first 2 shown]
	v_cmp_le_u32_e64 s[4:5], s16, v17
	v_cmp_le_u32_e64 s[6:7], s16, v18
	s_mov_b32 s16, 0
	v_mov_b32_e32 v14, s15
	s_branch .LBB3_3
.LBB3_2:                                ;   in Loop: Header=BB3_3 Depth=1
	s_or_b64 exec, exec, s[10:11]
	s_add_i32 s16, s16, 32
	s_cmp_lt_i32 s16, s17
	s_cbranch_scc0 .LBB3_20
.LBB3_3:                                ; =>This Inner Loop Header: Depth=1
	v_add_u32_e32 v15, s16, v9
	v_cmp_gt_u32_e64 s[8:9], s17, v15
	s_and_b64 s[8:9], vcc, s[8:9]
	s_waitcnt vmcnt(0) lgkmcnt(0)
	s_barrier
	s_and_saveexec_b64 s[10:11], s[8:9]
	s_cbranch_execz .LBB3_5
; %bb.4:                                ;   in Loop: Header=BB3_3 Depth=1
	v_mad_u64_u32 v[16:17], s[8:9], s12, v15, 0
	v_mad_u64_u32 v[17:18], s[8:9], s13, v15, v[17:18]
	v_lshlrev_b64 v[16:17], 3, v[16:17]
	v_add_co_u32_e64 v16, s[8:9], v10, v16
	v_addc_co_u32_e64 v17, s[8:9], v11, v17, s[8:9]
	global_load_dwordx2 v[16:17], v[16:17], off
	s_waitcnt vmcnt(0)
	ds_write_b64 v12, v[16:17]
.LBB3_5:                                ;   in Loop: Header=BB3_3 Depth=1
	s_or_b64 exec, exec, s[10:11]
	s_and_saveexec_b64 s[10:11], vcc
	s_cbranch_execz .LBB3_12
; %bb.6:                                ;   in Loop: Header=BB3_3 Depth=1
	v_add_u32_e32 v16, 8, v15
	v_cmp_gt_u32_e64 s[8:9], s17, v16
	s_and_saveexec_b64 s[20:21], s[8:9]
	s_cbranch_execz .LBB3_8
; %bb.7:                                ;   in Loop: Header=BB3_3 Depth=1
	v_mad_u64_u32 v[17:18], s[8:9], s12, v16, 0
	v_mad_u64_u32 v[18:19], s[8:9], s13, v16, v[18:19]
	v_lshlrev_b64 v[16:17], 3, v[17:18]
	v_add_co_u32_e64 v16, s[8:9], v10, v16
	v_addc_co_u32_e64 v17, s[8:9], v11, v17, s[8:9]
	global_load_dwordx2 v[16:17], v[16:17], off
	s_waitcnt vmcnt(0)
	ds_write_b64 v12, v[16:17] offset:2048
.LBB3_8:                                ;   in Loop: Header=BB3_3 Depth=1
	s_or_b64 exec, exec, s[20:21]
	v_add_u32_e32 v16, 16, v15
	v_cmp_gt_u32_e64 s[8:9], s17, v16
	s_and_saveexec_b64 s[20:21], s[8:9]
	s_cbranch_execz .LBB3_10
; %bb.9:                                ;   in Loop: Header=BB3_3 Depth=1
	v_mad_u64_u32 v[17:18], s[8:9], s12, v16, 0
	v_mad_u64_u32 v[18:19], s[8:9], s13, v16, v[18:19]
	v_lshlrev_b64 v[16:17], 3, v[17:18]
	v_add_co_u32_e64 v16, s[8:9], v10, v16
	v_addc_co_u32_e64 v17, s[8:9], v11, v17, s[8:9]
	global_load_dwordx2 v[16:17], v[16:17], off
	s_waitcnt vmcnt(0)
	ds_write_b64 v12, v[16:17] offset:4096
.LBB3_10:                               ;   in Loop: Header=BB3_3 Depth=1
	s_or_b64 exec, exec, s[20:21]
	v_add_u32_e32 v15, 24, v15
	v_cmp_gt_u32_e64 s[8:9], s17, v15
	s_and_b64 exec, exec, s[8:9]
	s_cbranch_execz .LBB3_12
; %bb.11:                               ;   in Loop: Header=BB3_3 Depth=1
	v_mad_u64_u32 v[16:17], s[8:9], s12, v15, 0
	v_mad_u64_u32 v[17:18], s[8:9], s13, v15, v[17:18]
	v_lshlrev_b64 v[15:16], 3, v[16:17]
	v_add_co_u32_e64 v15, s[8:9], v10, v15
	v_addc_co_u32_e64 v16, s[8:9], v11, v16, s[8:9]
	global_load_dwordx2 v[15:16], v[15:16], off
	s_waitcnt vmcnt(0)
	ds_write_b64 v12, v[15:16] offset:6144
.LBB3_12:                               ;   in Loop: Header=BB3_3 Depth=1
	s_or_b64 exec, exec, s[10:11]
	v_add_u32_e32 v15, s16, v8
	v_ashrrev_i32_e32 v16, 31, v15
	v_cmp_le_i32_e64 s[8:9], s17, v15
	v_lshlrev_b64 v[15:16], 3, v[15:16]
	s_waitcnt lgkmcnt(0)
	v_add_co_u32_e64 v15, s[10:11], s14, v15
	v_addc_co_u32_e64 v16, s[10:11], v14, v16, s[10:11]
	s_nor_b64 s[10:11], s[8:9], s[0:1]
	s_barrier
	s_and_saveexec_b64 s[20:21], s[10:11]
	s_cbranch_execnz .LBB3_16
; %bb.13:                               ;   in Loop: Header=BB3_3 Depth=1
	s_or_b64 exec, exec, s[20:21]
	s_nor_b64 s[10:11], s[8:9], s[2:3]
	s_and_saveexec_b64 s[20:21], s[10:11]
	s_cbranch_execnz .LBB3_17
.LBB3_14:                               ;   in Loop: Header=BB3_3 Depth=1
	s_or_b64 exec, exec, s[20:21]
	s_nor_b64 s[10:11], s[8:9], s[4:5]
	s_and_saveexec_b64 s[20:21], s[10:11]
	s_cbranch_execnz .LBB3_18
.LBB3_15:                               ;   in Loop: Header=BB3_3 Depth=1
	s_or_b64 exec, exec, s[20:21]
	s_nor_b64 s[8:9], s[8:9], s[6:7]
	s_and_saveexec_b64 s[10:11], s[8:9]
	s_cbranch_execz .LBB3_2
	s_branch .LBB3_19
.LBB3_16:                               ;   in Loop: Header=BB3_3 Depth=1
	ds_read_b64 v[17:18], v13
	v_add_co_u32_e64 v19, s[10:11], v15, v0
	v_addc_co_u32_e64 v20, s[10:11], v16, v1, s[10:11]
	s_waitcnt lgkmcnt(0)
	v_mul_f64 v[17:18], s[18:19], v[17:18]
	global_store_dwordx2 v[19:20], v[17:18], off
	s_or_b64 exec, exec, s[20:21]
	s_nor_b64 s[10:11], s[8:9], s[2:3]
	s_and_saveexec_b64 s[20:21], s[10:11]
	s_cbranch_execz .LBB3_14
.LBB3_17:                               ;   in Loop: Header=BB3_3 Depth=1
	ds_read_b64 v[17:18], v13 offset:64
	v_add_co_u32_e64 v19, s[10:11], v15, v2
	v_addc_co_u32_e64 v20, s[10:11], v16, v3, s[10:11]
	s_waitcnt lgkmcnt(0)
	v_mul_f64 v[17:18], s[18:19], v[17:18]
	global_store_dwordx2 v[19:20], v[17:18], off
	s_or_b64 exec, exec, s[20:21]
	s_nor_b64 s[10:11], s[8:9], s[4:5]
	s_and_saveexec_b64 s[20:21], s[10:11]
	s_cbranch_execz .LBB3_15
.LBB3_18:                               ;   in Loop: Header=BB3_3 Depth=1
	ds_read_b64 v[17:18], v13 offset:128
	v_add_co_u32_e64 v19, s[10:11], v15, v4
	v_addc_co_u32_e64 v20, s[10:11], v16, v5, s[10:11]
	s_waitcnt lgkmcnt(0)
	v_mul_f64 v[17:18], s[18:19], v[17:18]
	global_store_dwordx2 v[19:20], v[17:18], off
	s_or_b64 exec, exec, s[20:21]
	s_nor_b64 s[8:9], s[8:9], s[6:7]
	s_and_saveexec_b64 s[10:11], s[8:9]
	s_cbranch_execz .LBB3_2
.LBB3_19:                               ;   in Loop: Header=BB3_3 Depth=1
	ds_read_b64 v[17:18], v13 offset:192
	v_add_co_u32_e64 v15, s[8:9], v15, v6
	v_addc_co_u32_e64 v16, s[8:9], v16, v7, s[8:9]
	s_waitcnt lgkmcnt(0)
	v_mul_f64 v[17:18], s[18:19], v[17:18]
	global_store_dwordx2 v[15:16], v[17:18], off
	s_branch .LBB3_2
.LBB3_20:
	s_endpgm
	.section	.rodata,"a",@progbits
	.p2align	6, 0x0
	.amdhsa_kernel _ZN9rocsparseL22dense_transpose_kernelILj32ELj8EidPKdEEvT1_S3_T3_PKT2_lPS5_l
		.amdhsa_group_segment_fixed_size 8192
		.amdhsa_private_segment_fixed_size 0
		.amdhsa_kernarg_size 48
		.amdhsa_user_sgpr_count 6
		.amdhsa_user_sgpr_private_segment_buffer 1
		.amdhsa_user_sgpr_dispatch_ptr 0
		.amdhsa_user_sgpr_queue_ptr 0
		.amdhsa_user_sgpr_kernarg_segment_ptr 1
		.amdhsa_user_sgpr_dispatch_id 0
		.amdhsa_user_sgpr_flat_scratch_init 0
		.amdhsa_user_sgpr_private_segment_size 0
		.amdhsa_uses_dynamic_stack 0
		.amdhsa_system_sgpr_private_segment_wavefront_offset 0
		.amdhsa_system_sgpr_workgroup_id_x 1
		.amdhsa_system_sgpr_workgroup_id_y 0
		.amdhsa_system_sgpr_workgroup_id_z 0
		.amdhsa_system_sgpr_workgroup_info 0
		.amdhsa_system_vgpr_workitem_id 0
		.amdhsa_next_free_vgpr 29
		.amdhsa_next_free_sgpr 61
		.amdhsa_reserve_vcc 1
		.amdhsa_reserve_flat_scratch 0
		.amdhsa_float_round_mode_32 0
		.amdhsa_float_round_mode_16_64 0
		.amdhsa_float_denorm_mode_32 3
		.amdhsa_float_denorm_mode_16_64 3
		.amdhsa_dx10_clamp 1
		.amdhsa_ieee_mode 1
		.amdhsa_fp16_overflow 0
		.amdhsa_exception_fp_ieee_invalid_op 0
		.amdhsa_exception_fp_denorm_src 0
		.amdhsa_exception_fp_ieee_div_zero 0
		.amdhsa_exception_fp_ieee_overflow 0
		.amdhsa_exception_fp_ieee_underflow 0
		.amdhsa_exception_fp_ieee_inexact 0
		.amdhsa_exception_int_div_zero 0
	.end_amdhsa_kernel
	.section	.text._ZN9rocsparseL22dense_transpose_kernelILj32ELj8EidPKdEEvT1_S3_T3_PKT2_lPS5_l,"axG",@progbits,_ZN9rocsparseL22dense_transpose_kernelILj32ELj8EidPKdEEvT1_S3_T3_PKT2_lPS5_l,comdat
.Lfunc_end3:
	.size	_ZN9rocsparseL22dense_transpose_kernelILj32ELj8EidPKdEEvT1_S3_T3_PKT2_lPS5_l, .Lfunc_end3-_ZN9rocsparseL22dense_transpose_kernelILj32ELj8EidPKdEEvT1_S3_T3_PKT2_lPS5_l
                                        ; -- End function
	.set _ZN9rocsparseL22dense_transpose_kernelILj32ELj8EidPKdEEvT1_S3_T3_PKT2_lPS5_l.num_vgpr, 21
	.set _ZN9rocsparseL22dense_transpose_kernelILj32ELj8EidPKdEEvT1_S3_T3_PKT2_lPS5_l.num_agpr, 0
	.set _ZN9rocsparseL22dense_transpose_kernelILj32ELj8EidPKdEEvT1_S3_T3_PKT2_lPS5_l.numbered_sgpr, 22
	.set _ZN9rocsparseL22dense_transpose_kernelILj32ELj8EidPKdEEvT1_S3_T3_PKT2_lPS5_l.num_named_barrier, 0
	.set _ZN9rocsparseL22dense_transpose_kernelILj32ELj8EidPKdEEvT1_S3_T3_PKT2_lPS5_l.private_seg_size, 0
	.set _ZN9rocsparseL22dense_transpose_kernelILj32ELj8EidPKdEEvT1_S3_T3_PKT2_lPS5_l.uses_vcc, 1
	.set _ZN9rocsparseL22dense_transpose_kernelILj32ELj8EidPKdEEvT1_S3_T3_PKT2_lPS5_l.uses_flat_scratch, 0
	.set _ZN9rocsparseL22dense_transpose_kernelILj32ELj8EidPKdEEvT1_S3_T3_PKT2_lPS5_l.has_dyn_sized_stack, 0
	.set _ZN9rocsparseL22dense_transpose_kernelILj32ELj8EidPKdEEvT1_S3_T3_PKT2_lPS5_l.has_recursion, 0
	.set _ZN9rocsparseL22dense_transpose_kernelILj32ELj8EidPKdEEvT1_S3_T3_PKT2_lPS5_l.has_indirect_call, 0
	.section	.AMDGPU.csdata,"",@progbits
; Kernel info:
; codeLenInByte = 1020
; TotalNumSgprs: 26
; NumVgprs: 21
; ScratchSize: 0
; MemoryBound: 0
; FloatMode: 240
; IeeeMode: 1
; LDSByteSize: 8192 bytes/workgroup (compile time only)
; SGPRBlocks: 8
; VGPRBlocks: 7
; NumSGPRsForWavesPerEU: 65
; NumVGPRsForWavesPerEU: 29
; Occupancy: 8
; WaveLimiterHint : 0
; COMPUTE_PGM_RSRC2:SCRATCH_EN: 0
; COMPUTE_PGM_RSRC2:USER_SGPR: 6
; COMPUTE_PGM_RSRC2:TRAP_HANDLER: 0
; COMPUTE_PGM_RSRC2:TGID_X_EN: 1
; COMPUTE_PGM_RSRC2:TGID_Y_EN: 0
; COMPUTE_PGM_RSRC2:TGID_Z_EN: 0
; COMPUTE_PGM_RSRC2:TIDIG_COMP_CNT: 0
	.section	.text._ZN9rocsparseL22dense_transpose_kernelILj32ELj8Ei21rocsparse_complex_numIfES2_EEvT1_S3_T3_PKT2_lPS5_l,"axG",@progbits,_ZN9rocsparseL22dense_transpose_kernelILj32ELj8Ei21rocsparse_complex_numIfES2_EEvT1_S3_T3_PKT2_lPS5_l,comdat
	.globl	_ZN9rocsparseL22dense_transpose_kernelILj32ELj8Ei21rocsparse_complex_numIfES2_EEvT1_S3_T3_PKT2_lPS5_l ; -- Begin function _ZN9rocsparseL22dense_transpose_kernelILj32ELj8Ei21rocsparse_complex_numIfES2_EEvT1_S3_T3_PKT2_lPS5_l
	.p2align	8
	.type	_ZN9rocsparseL22dense_transpose_kernelILj32ELj8Ei21rocsparse_complex_numIfES2_EEvT1_S3_T3_PKT2_lPS5_l,@function
_ZN9rocsparseL22dense_transpose_kernelILj32ELj8Ei21rocsparse_complex_numIfES2_EEvT1_S3_T3_PKT2_lPS5_l: ; @_ZN9rocsparseL22dense_transpose_kernelILj32ELj8Ei21rocsparse_complex_numIfES2_EEvT1_S3_T3_PKT2_lPS5_l
; %bb.0:
	s_load_dwordx4 s[20:23], s[4:5], 0x0
	s_waitcnt lgkmcnt(0)
	s_cmp_lt_i32 s21, 1
	s_cbranch_scc1 .LBB4_20
; %bb.1:
	s_load_dwordx8 s[12:19], s[4:5], 0x10
	v_and_b32_e32 v8, 31, v0
	s_lshl_b32 s0, s6, 5
	v_lshrrev_b32_e32 v9, 5, v0
	v_or_b32_e32 v0, s0, v8
	v_ashrrev_i32_e32 v1, 31, v0
	v_cmp_gt_i32_e32 vcc, s20, v0
	v_lshlrev_b64 v[0:1], 3, v[0:1]
	v_or_b32_e32 v7, s0, v9
	s_waitcnt lgkmcnt(0)
	v_add_co_u32_e64 v10, s[0:1], s12, v0
	v_lshlrev_b32_e32 v0, 3, v8
	v_mov_b32_e32 v2, s13
	v_lshl_or_b32 v12, v9, 8, v0
	v_lshlrev_b32_e32 v0, 3, v9
	v_or_b32_e32 v14, 8, v7
	v_addc_co_u32_e64 v11, s[0:1], v2, v1, s[0:1]
	v_lshl_or_b32 v13, v8, 8, v0
	v_mad_u64_u32 v[0:1], s[0:1], s18, v7, 0
	v_mad_u64_u32 v[2:3], s[0:1], s18, v14, 0
	v_or_b32_e32 v17, 16, v7
	v_or_b32_e32 v18, 24, v7
	v_mad_u64_u32 v[4:5], s[0:1], s19, v7, v[1:2]
	v_mov_b32_e32 v1, v3
	v_mad_u64_u32 v[5:6], s[0:1], s19, v14, v[1:2]
	v_cmp_le_u32_e64 s[0:1], s20, v7
	v_mov_b32_e32 v1, v4
	v_mov_b32_e32 v3, v5
	v_mad_u64_u32 v[4:5], s[4:5], s18, v17, 0
	v_mad_u64_u32 v[6:7], s[4:5], s18, v18, 0
	v_cmp_le_u32_e64 s[2:3], s20, v14
	v_lshlrev_b64 v[0:1], 3, v[0:1]
	v_mad_u64_u32 v[14:15], s[4:5], s19, v17, v[5:6]
	v_mov_b32_e32 v5, v7
	v_mad_u64_u32 v[15:16], s[4:5], s19, v18, v[5:6]
	v_mov_b32_e32 v5, v14
	v_lshlrev_b64 v[2:3], 3, v[2:3]
	v_mov_b32_e32 v7, v15
	v_lshlrev_b64 v[4:5], 3, v[4:5]
	v_lshlrev_b64 v[6:7], 3, v[6:7]
	v_cmp_le_u32_e64 s[4:5], s20, v17
	v_cmp_le_u32_e64 s[6:7], s20, v18
	s_mov_b32 s18, 0
	v_mov_b32_e32 v14, s17
	s_branch .LBB4_3
.LBB4_2:                                ;   in Loop: Header=BB4_3 Depth=1
	s_or_b64 exec, exec, s[10:11]
	s_add_i32 s18, s18, 32
	s_cmp_lt_i32 s18, s21
	s_cbranch_scc0 .LBB4_20
.LBB4_3:                                ; =>This Inner Loop Header: Depth=1
	v_add_u32_e32 v15, s18, v9
	v_cmp_gt_u32_e64 s[8:9], s21, v15
	s_and_b64 s[8:9], vcc, s[8:9]
	s_waitcnt vmcnt(0)
	s_barrier
	s_and_saveexec_b64 s[10:11], s[8:9]
	s_cbranch_execz .LBB4_5
; %bb.4:                                ;   in Loop: Header=BB4_3 Depth=1
	v_mad_u64_u32 v[16:17], s[8:9], s14, v15, 0
	v_mad_u64_u32 v[17:18], s[8:9], s15, v15, v[17:18]
	v_lshlrev_b64 v[16:17], 3, v[16:17]
	v_add_co_u32_e64 v16, s[8:9], v10, v16
	v_addc_co_u32_e64 v17, s[8:9], v11, v17, s[8:9]
	global_load_dwordx2 v[16:17], v[16:17], off
	s_waitcnt vmcnt(0)
	ds_write_b64 v12, v[16:17]
.LBB4_5:                                ;   in Loop: Header=BB4_3 Depth=1
	s_or_b64 exec, exec, s[10:11]
	s_and_saveexec_b64 s[10:11], vcc
	s_cbranch_execz .LBB4_12
; %bb.6:                                ;   in Loop: Header=BB4_3 Depth=1
	v_add_u32_e32 v16, 8, v15
	v_cmp_gt_u32_e64 s[8:9], s21, v16
	s_and_saveexec_b64 s[12:13], s[8:9]
	s_cbranch_execz .LBB4_8
; %bb.7:                                ;   in Loop: Header=BB4_3 Depth=1
	v_mad_u64_u32 v[17:18], s[8:9], s14, v16, 0
	v_mad_u64_u32 v[18:19], s[8:9], s15, v16, v[18:19]
	v_lshlrev_b64 v[16:17], 3, v[17:18]
	v_add_co_u32_e64 v16, s[8:9], v10, v16
	v_addc_co_u32_e64 v17, s[8:9], v11, v17, s[8:9]
	global_load_dwordx2 v[16:17], v[16:17], off
	s_waitcnt vmcnt(0)
	ds_write_b64 v12, v[16:17] offset:2048
.LBB4_8:                                ;   in Loop: Header=BB4_3 Depth=1
	s_or_b64 exec, exec, s[12:13]
	v_add_u32_e32 v16, 16, v15
	v_cmp_gt_u32_e64 s[8:9], s21, v16
	s_and_saveexec_b64 s[12:13], s[8:9]
	s_cbranch_execz .LBB4_10
; %bb.9:                                ;   in Loop: Header=BB4_3 Depth=1
	v_mad_u64_u32 v[17:18], s[8:9], s14, v16, 0
	v_mad_u64_u32 v[18:19], s[8:9], s15, v16, v[18:19]
	v_lshlrev_b64 v[16:17], 3, v[17:18]
	v_add_co_u32_e64 v16, s[8:9], v10, v16
	v_addc_co_u32_e64 v17, s[8:9], v11, v17, s[8:9]
	global_load_dwordx2 v[16:17], v[16:17], off
	s_waitcnt vmcnt(0)
	ds_write_b64 v12, v[16:17] offset:4096
.LBB4_10:                               ;   in Loop: Header=BB4_3 Depth=1
	s_or_b64 exec, exec, s[12:13]
	v_add_u32_e32 v15, 24, v15
	v_cmp_gt_u32_e64 s[8:9], s21, v15
	s_and_b64 exec, exec, s[8:9]
	s_cbranch_execz .LBB4_12
; %bb.11:                               ;   in Loop: Header=BB4_3 Depth=1
	v_mad_u64_u32 v[16:17], s[8:9], s14, v15, 0
	v_mad_u64_u32 v[17:18], s[8:9], s15, v15, v[17:18]
	v_lshlrev_b64 v[15:16], 3, v[16:17]
	v_add_co_u32_e64 v15, s[8:9], v10, v15
	v_addc_co_u32_e64 v16, s[8:9], v11, v16, s[8:9]
	global_load_dwordx2 v[15:16], v[15:16], off
	s_waitcnt vmcnt(0)
	ds_write_b64 v12, v[15:16] offset:6144
.LBB4_12:                               ;   in Loop: Header=BB4_3 Depth=1
	s_or_b64 exec, exec, s[10:11]
	v_add_u32_e32 v15, s18, v8
	v_ashrrev_i32_e32 v16, 31, v15
	v_cmp_le_i32_e64 s[8:9], s21, v15
	v_lshlrev_b64 v[15:16], 3, v[15:16]
	s_waitcnt lgkmcnt(0)
	v_add_co_u32_e64 v15, s[10:11], s16, v15
	v_addc_co_u32_e64 v16, s[10:11], v14, v16, s[10:11]
	s_nor_b64 s[10:11], s[8:9], s[0:1]
	s_barrier
	s_and_saveexec_b64 s[12:13], s[10:11]
	s_cbranch_execnz .LBB4_16
; %bb.13:                               ;   in Loop: Header=BB4_3 Depth=1
	s_or_b64 exec, exec, s[12:13]
	s_nor_b64 s[10:11], s[8:9], s[2:3]
	s_and_saveexec_b64 s[12:13], s[10:11]
	s_cbranch_execnz .LBB4_17
.LBB4_14:                               ;   in Loop: Header=BB4_3 Depth=1
	s_or_b64 exec, exec, s[12:13]
	s_nor_b64 s[10:11], s[8:9], s[4:5]
	s_and_saveexec_b64 s[12:13], s[10:11]
	s_cbranch_execnz .LBB4_18
.LBB4_15:                               ;   in Loop: Header=BB4_3 Depth=1
	s_or_b64 exec, exec, s[12:13]
	s_nor_b64 s[8:9], s[8:9], s[6:7]
	s_and_saveexec_b64 s[10:11], s[8:9]
	s_cbranch_execz .LBB4_2
	s_branch .LBB4_19
.LBB4_16:                               ;   in Loop: Header=BB4_3 Depth=1
	ds_read_b64 v[17:18], v13
	s_waitcnt lgkmcnt(0)
	v_mul_f32_e64 v19, v18, -s23
	v_mul_f32_e32 v20, s22, v18
	v_fmac_f32_e32 v19, s22, v17
	v_fmac_f32_e32 v20, s23, v17
	v_add_co_u32_e64 v17, s[10:11], v15, v0
	v_addc_co_u32_e64 v18, s[10:11], v16, v1, s[10:11]
	global_store_dwordx2 v[17:18], v[19:20], off
	s_or_b64 exec, exec, s[12:13]
	s_nor_b64 s[10:11], s[8:9], s[2:3]
	s_and_saveexec_b64 s[12:13], s[10:11]
	s_cbranch_execz .LBB4_14
.LBB4_17:                               ;   in Loop: Header=BB4_3 Depth=1
	ds_read_b64 v[17:18], v13 offset:64
	s_waitcnt lgkmcnt(0)
	v_mul_f32_e64 v19, v18, -s23
	v_mul_f32_e32 v20, s22, v18
	v_fmac_f32_e32 v19, s22, v17
	v_fmac_f32_e32 v20, s23, v17
	v_add_co_u32_e64 v17, s[10:11], v15, v2
	v_addc_co_u32_e64 v18, s[10:11], v16, v3, s[10:11]
	global_store_dwordx2 v[17:18], v[19:20], off
	s_or_b64 exec, exec, s[12:13]
	s_nor_b64 s[10:11], s[8:9], s[4:5]
	s_and_saveexec_b64 s[12:13], s[10:11]
	s_cbranch_execz .LBB4_15
.LBB4_18:                               ;   in Loop: Header=BB4_3 Depth=1
	ds_read_b64 v[17:18], v13 offset:128
	s_waitcnt lgkmcnt(0)
	v_mul_f32_e64 v19, v18, -s23
	v_mul_f32_e32 v20, s22, v18
	v_fmac_f32_e32 v19, s22, v17
	v_fmac_f32_e32 v20, s23, v17
	v_add_co_u32_e64 v17, s[10:11], v15, v4
	v_addc_co_u32_e64 v18, s[10:11], v16, v5, s[10:11]
	global_store_dwordx2 v[17:18], v[19:20], off
	s_or_b64 exec, exec, s[12:13]
	s_nor_b64 s[8:9], s[8:9], s[6:7]
	s_and_saveexec_b64 s[10:11], s[8:9]
	s_cbranch_execz .LBB4_2
.LBB4_19:                               ;   in Loop: Header=BB4_3 Depth=1
	ds_read_b64 v[17:18], v13 offset:192
	v_add_co_u32_e64 v15, s[8:9], v15, v6
	v_addc_co_u32_e64 v16, s[8:9], v16, v7, s[8:9]
	s_waitcnt lgkmcnt(0)
	v_mul_f32_e64 v19, v18, -s23
	v_mul_f32_e32 v20, s22, v18
	v_fmac_f32_e32 v19, s22, v17
	v_fmac_f32_e32 v20, s23, v17
	global_store_dwordx2 v[15:16], v[19:20], off
	s_branch .LBB4_2
.LBB4_20:
	s_endpgm
	.section	.rodata,"a",@progbits
	.p2align	6, 0x0
	.amdhsa_kernel _ZN9rocsparseL22dense_transpose_kernelILj32ELj8Ei21rocsparse_complex_numIfES2_EEvT1_S3_T3_PKT2_lPS5_l
		.amdhsa_group_segment_fixed_size 8192
		.amdhsa_private_segment_fixed_size 0
		.amdhsa_kernarg_size 48
		.amdhsa_user_sgpr_count 6
		.amdhsa_user_sgpr_private_segment_buffer 1
		.amdhsa_user_sgpr_dispatch_ptr 0
		.amdhsa_user_sgpr_queue_ptr 0
		.amdhsa_user_sgpr_kernarg_segment_ptr 1
		.amdhsa_user_sgpr_dispatch_id 0
		.amdhsa_user_sgpr_flat_scratch_init 0
		.amdhsa_user_sgpr_private_segment_size 0
		.amdhsa_uses_dynamic_stack 0
		.amdhsa_system_sgpr_private_segment_wavefront_offset 0
		.amdhsa_system_sgpr_workgroup_id_x 1
		.amdhsa_system_sgpr_workgroup_id_y 0
		.amdhsa_system_sgpr_workgroup_id_z 0
		.amdhsa_system_sgpr_workgroup_info 0
		.amdhsa_system_vgpr_workitem_id 0
		.amdhsa_next_free_vgpr 29
		.amdhsa_next_free_sgpr 61
		.amdhsa_reserve_vcc 1
		.amdhsa_reserve_flat_scratch 0
		.amdhsa_float_round_mode_32 0
		.amdhsa_float_round_mode_16_64 0
		.amdhsa_float_denorm_mode_32 3
		.amdhsa_float_denorm_mode_16_64 3
		.amdhsa_dx10_clamp 1
		.amdhsa_ieee_mode 1
		.amdhsa_fp16_overflow 0
		.amdhsa_exception_fp_ieee_invalid_op 0
		.amdhsa_exception_fp_denorm_src 0
		.amdhsa_exception_fp_ieee_div_zero 0
		.amdhsa_exception_fp_ieee_overflow 0
		.amdhsa_exception_fp_ieee_underflow 0
		.amdhsa_exception_fp_ieee_inexact 0
		.amdhsa_exception_int_div_zero 0
	.end_amdhsa_kernel
	.section	.text._ZN9rocsparseL22dense_transpose_kernelILj32ELj8Ei21rocsparse_complex_numIfES2_EEvT1_S3_T3_PKT2_lPS5_l,"axG",@progbits,_ZN9rocsparseL22dense_transpose_kernelILj32ELj8Ei21rocsparse_complex_numIfES2_EEvT1_S3_T3_PKT2_lPS5_l,comdat
.Lfunc_end4:
	.size	_ZN9rocsparseL22dense_transpose_kernelILj32ELj8Ei21rocsparse_complex_numIfES2_EEvT1_S3_T3_PKT2_lPS5_l, .Lfunc_end4-_ZN9rocsparseL22dense_transpose_kernelILj32ELj8Ei21rocsparse_complex_numIfES2_EEvT1_S3_T3_PKT2_lPS5_l
                                        ; -- End function
	.set _ZN9rocsparseL22dense_transpose_kernelILj32ELj8Ei21rocsparse_complex_numIfES2_EEvT1_S3_T3_PKT2_lPS5_l.num_vgpr, 21
	.set _ZN9rocsparseL22dense_transpose_kernelILj32ELj8Ei21rocsparse_complex_numIfES2_EEvT1_S3_T3_PKT2_lPS5_l.num_agpr, 0
	.set _ZN9rocsparseL22dense_transpose_kernelILj32ELj8Ei21rocsparse_complex_numIfES2_EEvT1_S3_T3_PKT2_lPS5_l.numbered_sgpr, 24
	.set _ZN9rocsparseL22dense_transpose_kernelILj32ELj8Ei21rocsparse_complex_numIfES2_EEvT1_S3_T3_PKT2_lPS5_l.num_named_barrier, 0
	.set _ZN9rocsparseL22dense_transpose_kernelILj32ELj8Ei21rocsparse_complex_numIfES2_EEvT1_S3_T3_PKT2_lPS5_l.private_seg_size, 0
	.set _ZN9rocsparseL22dense_transpose_kernelILj32ELj8Ei21rocsparse_complex_numIfES2_EEvT1_S3_T3_PKT2_lPS5_l.uses_vcc, 1
	.set _ZN9rocsparseL22dense_transpose_kernelILj32ELj8Ei21rocsparse_complex_numIfES2_EEvT1_S3_T3_PKT2_lPS5_l.uses_flat_scratch, 0
	.set _ZN9rocsparseL22dense_transpose_kernelILj32ELj8Ei21rocsparse_complex_numIfES2_EEvT1_S3_T3_PKT2_lPS5_l.has_dyn_sized_stack, 0
	.set _ZN9rocsparseL22dense_transpose_kernelILj32ELj8Ei21rocsparse_complex_numIfES2_EEvT1_S3_T3_PKT2_lPS5_l.has_recursion, 0
	.set _ZN9rocsparseL22dense_transpose_kernelILj32ELj8Ei21rocsparse_complex_numIfES2_EEvT1_S3_T3_PKT2_lPS5_l.has_indirect_call, 0
	.section	.AMDGPU.csdata,"",@progbits
; Kernel info:
; codeLenInByte = 1052
; TotalNumSgprs: 28
; NumVgprs: 21
; ScratchSize: 0
; MemoryBound: 0
; FloatMode: 240
; IeeeMode: 1
; LDSByteSize: 8192 bytes/workgroup (compile time only)
; SGPRBlocks: 8
; VGPRBlocks: 7
; NumSGPRsForWavesPerEU: 65
; NumVGPRsForWavesPerEU: 29
; Occupancy: 8
; WaveLimiterHint : 0
; COMPUTE_PGM_RSRC2:SCRATCH_EN: 0
; COMPUTE_PGM_RSRC2:USER_SGPR: 6
; COMPUTE_PGM_RSRC2:TRAP_HANDLER: 0
; COMPUTE_PGM_RSRC2:TGID_X_EN: 1
; COMPUTE_PGM_RSRC2:TGID_Y_EN: 0
; COMPUTE_PGM_RSRC2:TGID_Z_EN: 0
; COMPUTE_PGM_RSRC2:TIDIG_COMP_CNT: 0
	.section	.text._ZN9rocsparseL22dense_transpose_kernelILj32ELj8Ei21rocsparse_complex_numIfEPKS2_EEvT1_S5_T3_PKT2_lPS7_l,"axG",@progbits,_ZN9rocsparseL22dense_transpose_kernelILj32ELj8Ei21rocsparse_complex_numIfEPKS2_EEvT1_S5_T3_PKT2_lPS7_l,comdat
	.globl	_ZN9rocsparseL22dense_transpose_kernelILj32ELj8Ei21rocsparse_complex_numIfEPKS2_EEvT1_S5_T3_PKT2_lPS7_l ; -- Begin function _ZN9rocsparseL22dense_transpose_kernelILj32ELj8Ei21rocsparse_complex_numIfEPKS2_EEvT1_S5_T3_PKT2_lPS7_l
	.p2align	8
	.type	_ZN9rocsparseL22dense_transpose_kernelILj32ELj8Ei21rocsparse_complex_numIfEPKS2_EEvT1_S5_T3_PKT2_lPS7_l,@function
_ZN9rocsparseL22dense_transpose_kernelILj32ELj8Ei21rocsparse_complex_numIfEPKS2_EEvT1_S5_T3_PKT2_lPS7_l: ; @_ZN9rocsparseL22dense_transpose_kernelILj32ELj8Ei21rocsparse_complex_numIfEPKS2_EEvT1_S5_T3_PKT2_lPS7_l
; %bb.0:
	s_load_dwordx2 s[16:17], s[4:5], 0x0
	s_waitcnt lgkmcnt(0)
	s_cmp_lt_i32 s17, 1
	s_cbranch_scc1 .LBB5_20
; %bb.1:
	v_and_b32_e32 v8, 31, v0
	s_lshl_b32 s0, s6, 5
	s_load_dwordx8 s[8:15], s[4:5], 0x8
	s_load_dwordx2 s[20:21], s[4:5], 0x28
	v_lshrrev_b32_e32 v9, 5, v0
	v_or_b32_e32 v0, s0, v8
	v_ashrrev_i32_e32 v1, 31, v0
	v_cmp_gt_i32_e32 vcc, s16, v0
	v_lshlrev_b64 v[0:1], 3, v[0:1]
	v_or_b32_e32 v7, s0, v9
	s_waitcnt lgkmcnt(0)
	v_add_co_u32_e64 v10, s[0:1], s10, v0
	v_lshlrev_b32_e32 v0, 3, v8
	v_mov_b32_e32 v2, s11
	v_lshl_or_b32 v12, v9, 8, v0
	v_lshlrev_b32_e32 v0, 3, v9
	v_or_b32_e32 v14, 8, v7
	v_addc_co_u32_e64 v11, s[0:1], v2, v1, s[0:1]
	v_lshl_or_b32 v13, v8, 8, v0
	v_mad_u64_u32 v[0:1], s[0:1], s20, v7, 0
	v_mad_u64_u32 v[2:3], s[0:1], s20, v14, 0
	v_or_b32_e32 v17, 16, v7
	v_or_b32_e32 v18, 24, v7
	v_mad_u64_u32 v[4:5], s[0:1], s21, v7, v[1:2]
	v_mov_b32_e32 v1, v3
	v_mad_u64_u32 v[5:6], s[0:1], s21, v14, v[1:2]
	v_cmp_le_u32_e64 s[0:1], s16, v7
	v_mov_b32_e32 v1, v4
	v_mov_b32_e32 v3, v5
	v_mad_u64_u32 v[4:5], s[4:5], s20, v17, 0
	v_mad_u64_u32 v[6:7], s[4:5], s20, v18, 0
	v_cmp_le_u32_e64 s[2:3], s16, v14
	s_load_dwordx2 s[18:19], s[8:9], 0x0
	v_mad_u64_u32 v[14:15], s[4:5], s21, v17, v[5:6]
	v_mov_b32_e32 v5, v7
	v_mad_u64_u32 v[15:16], s[4:5], s21, v18, v[5:6]
	v_mov_b32_e32 v5, v14
	v_lshlrev_b64 v[0:1], 3, v[0:1]
	v_mov_b32_e32 v7, v15
	v_lshlrev_b64 v[2:3], 3, v[2:3]
	v_lshlrev_b64 v[4:5], 3, v[4:5]
	;; [unrolled: 1-line block ×3, first 2 shown]
	v_cmp_le_u32_e64 s[4:5], s16, v17
	v_cmp_le_u32_e64 s[6:7], s16, v18
	s_mov_b32 s16, 0
	v_mov_b32_e32 v14, s15
	s_branch .LBB5_3
.LBB5_2:                                ;   in Loop: Header=BB5_3 Depth=1
	s_or_b64 exec, exec, s[10:11]
	s_add_i32 s16, s16, 32
	s_cmp_lt_i32 s16, s17
	s_cbranch_scc0 .LBB5_20
.LBB5_3:                                ; =>This Inner Loop Header: Depth=1
	v_add_u32_e32 v15, s16, v9
	v_cmp_gt_u32_e64 s[8:9], s17, v15
	s_and_b64 s[8:9], vcc, s[8:9]
	s_waitcnt vmcnt(0) lgkmcnt(0)
	s_barrier
	s_and_saveexec_b64 s[10:11], s[8:9]
	s_cbranch_execz .LBB5_5
; %bb.4:                                ;   in Loop: Header=BB5_3 Depth=1
	v_mad_u64_u32 v[16:17], s[8:9], s12, v15, 0
	v_mad_u64_u32 v[17:18], s[8:9], s13, v15, v[17:18]
	v_lshlrev_b64 v[16:17], 3, v[16:17]
	v_add_co_u32_e64 v16, s[8:9], v10, v16
	v_addc_co_u32_e64 v17, s[8:9], v11, v17, s[8:9]
	global_load_dwordx2 v[16:17], v[16:17], off
	s_waitcnt vmcnt(0)
	ds_write_b64 v12, v[16:17]
.LBB5_5:                                ;   in Loop: Header=BB5_3 Depth=1
	s_or_b64 exec, exec, s[10:11]
	s_and_saveexec_b64 s[10:11], vcc
	s_cbranch_execz .LBB5_12
; %bb.6:                                ;   in Loop: Header=BB5_3 Depth=1
	v_add_u32_e32 v16, 8, v15
	v_cmp_gt_u32_e64 s[8:9], s17, v16
	s_and_saveexec_b64 s[20:21], s[8:9]
	s_cbranch_execz .LBB5_8
; %bb.7:                                ;   in Loop: Header=BB5_3 Depth=1
	v_mad_u64_u32 v[17:18], s[8:9], s12, v16, 0
	v_mad_u64_u32 v[18:19], s[8:9], s13, v16, v[18:19]
	v_lshlrev_b64 v[16:17], 3, v[17:18]
	v_add_co_u32_e64 v16, s[8:9], v10, v16
	v_addc_co_u32_e64 v17, s[8:9], v11, v17, s[8:9]
	global_load_dwordx2 v[16:17], v[16:17], off
	s_waitcnt vmcnt(0)
	ds_write_b64 v12, v[16:17] offset:2048
.LBB5_8:                                ;   in Loop: Header=BB5_3 Depth=1
	s_or_b64 exec, exec, s[20:21]
	v_add_u32_e32 v16, 16, v15
	v_cmp_gt_u32_e64 s[8:9], s17, v16
	s_and_saveexec_b64 s[20:21], s[8:9]
	s_cbranch_execz .LBB5_10
; %bb.9:                                ;   in Loop: Header=BB5_3 Depth=1
	v_mad_u64_u32 v[17:18], s[8:9], s12, v16, 0
	v_mad_u64_u32 v[18:19], s[8:9], s13, v16, v[18:19]
	v_lshlrev_b64 v[16:17], 3, v[17:18]
	v_add_co_u32_e64 v16, s[8:9], v10, v16
	v_addc_co_u32_e64 v17, s[8:9], v11, v17, s[8:9]
	global_load_dwordx2 v[16:17], v[16:17], off
	s_waitcnt vmcnt(0)
	ds_write_b64 v12, v[16:17] offset:4096
.LBB5_10:                               ;   in Loop: Header=BB5_3 Depth=1
	s_or_b64 exec, exec, s[20:21]
	v_add_u32_e32 v15, 24, v15
	v_cmp_gt_u32_e64 s[8:9], s17, v15
	s_and_b64 exec, exec, s[8:9]
	s_cbranch_execz .LBB5_12
; %bb.11:                               ;   in Loop: Header=BB5_3 Depth=1
	v_mad_u64_u32 v[16:17], s[8:9], s12, v15, 0
	v_mad_u64_u32 v[17:18], s[8:9], s13, v15, v[17:18]
	v_lshlrev_b64 v[15:16], 3, v[16:17]
	v_add_co_u32_e64 v15, s[8:9], v10, v15
	v_addc_co_u32_e64 v16, s[8:9], v11, v16, s[8:9]
	global_load_dwordx2 v[15:16], v[15:16], off
	s_waitcnt vmcnt(0)
	ds_write_b64 v12, v[15:16] offset:6144
.LBB5_12:                               ;   in Loop: Header=BB5_3 Depth=1
	s_or_b64 exec, exec, s[10:11]
	v_add_u32_e32 v15, s16, v8
	v_ashrrev_i32_e32 v16, 31, v15
	v_cmp_le_i32_e64 s[8:9], s17, v15
	v_lshlrev_b64 v[15:16], 3, v[15:16]
	s_waitcnt lgkmcnt(0)
	v_add_co_u32_e64 v15, s[10:11], s14, v15
	v_addc_co_u32_e64 v16, s[10:11], v14, v16, s[10:11]
	s_nor_b64 s[10:11], s[8:9], s[0:1]
	s_barrier
	s_and_saveexec_b64 s[20:21], s[10:11]
	s_cbranch_execnz .LBB5_16
; %bb.13:                               ;   in Loop: Header=BB5_3 Depth=1
	s_or_b64 exec, exec, s[20:21]
	s_nor_b64 s[10:11], s[8:9], s[2:3]
	s_and_saveexec_b64 s[20:21], s[10:11]
	s_cbranch_execnz .LBB5_17
.LBB5_14:                               ;   in Loop: Header=BB5_3 Depth=1
	s_or_b64 exec, exec, s[20:21]
	s_nor_b64 s[10:11], s[8:9], s[4:5]
	s_and_saveexec_b64 s[20:21], s[10:11]
	s_cbranch_execnz .LBB5_18
.LBB5_15:                               ;   in Loop: Header=BB5_3 Depth=1
	s_or_b64 exec, exec, s[20:21]
	s_nor_b64 s[8:9], s[8:9], s[6:7]
	s_and_saveexec_b64 s[10:11], s[8:9]
	s_cbranch_execz .LBB5_2
	s_branch .LBB5_19
.LBB5_16:                               ;   in Loop: Header=BB5_3 Depth=1
	ds_read_b64 v[17:18], v13
	s_waitcnt lgkmcnt(0)
	v_mul_f32_e64 v19, v18, -s19
	v_mul_f32_e32 v20, s18, v18
	v_fmac_f32_e32 v19, s18, v17
	v_fmac_f32_e32 v20, s19, v17
	v_add_co_u32_e64 v17, s[10:11], v15, v0
	v_addc_co_u32_e64 v18, s[10:11], v16, v1, s[10:11]
	global_store_dwordx2 v[17:18], v[19:20], off
	s_or_b64 exec, exec, s[20:21]
	s_nor_b64 s[10:11], s[8:9], s[2:3]
	s_and_saveexec_b64 s[20:21], s[10:11]
	s_cbranch_execz .LBB5_14
.LBB5_17:                               ;   in Loop: Header=BB5_3 Depth=1
	ds_read_b64 v[17:18], v13 offset:64
	s_waitcnt lgkmcnt(0)
	v_mul_f32_e64 v19, v18, -s19
	v_mul_f32_e32 v20, s18, v18
	v_fmac_f32_e32 v19, s18, v17
	v_fmac_f32_e32 v20, s19, v17
	v_add_co_u32_e64 v17, s[10:11], v15, v2
	v_addc_co_u32_e64 v18, s[10:11], v16, v3, s[10:11]
	global_store_dwordx2 v[17:18], v[19:20], off
	s_or_b64 exec, exec, s[20:21]
	s_nor_b64 s[10:11], s[8:9], s[4:5]
	s_and_saveexec_b64 s[20:21], s[10:11]
	s_cbranch_execz .LBB5_15
.LBB5_18:                               ;   in Loop: Header=BB5_3 Depth=1
	ds_read_b64 v[17:18], v13 offset:128
	s_waitcnt lgkmcnt(0)
	v_mul_f32_e64 v19, v18, -s19
	v_mul_f32_e32 v20, s18, v18
	v_fmac_f32_e32 v19, s18, v17
	v_fmac_f32_e32 v20, s19, v17
	v_add_co_u32_e64 v17, s[10:11], v15, v4
	v_addc_co_u32_e64 v18, s[10:11], v16, v5, s[10:11]
	global_store_dwordx2 v[17:18], v[19:20], off
	s_or_b64 exec, exec, s[20:21]
	s_nor_b64 s[8:9], s[8:9], s[6:7]
	s_and_saveexec_b64 s[10:11], s[8:9]
	s_cbranch_execz .LBB5_2
.LBB5_19:                               ;   in Loop: Header=BB5_3 Depth=1
	ds_read_b64 v[17:18], v13 offset:192
	v_add_co_u32_e64 v15, s[8:9], v15, v6
	v_addc_co_u32_e64 v16, s[8:9], v16, v7, s[8:9]
	s_waitcnt lgkmcnt(0)
	v_mul_f32_e64 v19, v18, -s19
	v_mul_f32_e32 v20, s18, v18
	v_fmac_f32_e32 v19, s18, v17
	v_fmac_f32_e32 v20, s19, v17
	global_store_dwordx2 v[15:16], v[19:20], off
	s_branch .LBB5_2
.LBB5_20:
	s_endpgm
	.section	.rodata,"a",@progbits
	.p2align	6, 0x0
	.amdhsa_kernel _ZN9rocsparseL22dense_transpose_kernelILj32ELj8Ei21rocsparse_complex_numIfEPKS2_EEvT1_S5_T3_PKT2_lPS7_l
		.amdhsa_group_segment_fixed_size 8192
		.amdhsa_private_segment_fixed_size 0
		.amdhsa_kernarg_size 48
		.amdhsa_user_sgpr_count 6
		.amdhsa_user_sgpr_private_segment_buffer 1
		.amdhsa_user_sgpr_dispatch_ptr 0
		.amdhsa_user_sgpr_queue_ptr 0
		.amdhsa_user_sgpr_kernarg_segment_ptr 1
		.amdhsa_user_sgpr_dispatch_id 0
		.amdhsa_user_sgpr_flat_scratch_init 0
		.amdhsa_user_sgpr_private_segment_size 0
		.amdhsa_uses_dynamic_stack 0
		.amdhsa_system_sgpr_private_segment_wavefront_offset 0
		.amdhsa_system_sgpr_workgroup_id_x 1
		.amdhsa_system_sgpr_workgroup_id_y 0
		.amdhsa_system_sgpr_workgroup_id_z 0
		.amdhsa_system_sgpr_workgroup_info 0
		.amdhsa_system_vgpr_workitem_id 0
		.amdhsa_next_free_vgpr 29
		.amdhsa_next_free_sgpr 61
		.amdhsa_reserve_vcc 1
		.amdhsa_reserve_flat_scratch 0
		.amdhsa_float_round_mode_32 0
		.amdhsa_float_round_mode_16_64 0
		.amdhsa_float_denorm_mode_32 3
		.amdhsa_float_denorm_mode_16_64 3
		.amdhsa_dx10_clamp 1
		.amdhsa_ieee_mode 1
		.amdhsa_fp16_overflow 0
		.amdhsa_exception_fp_ieee_invalid_op 0
		.amdhsa_exception_fp_denorm_src 0
		.amdhsa_exception_fp_ieee_div_zero 0
		.amdhsa_exception_fp_ieee_overflow 0
		.amdhsa_exception_fp_ieee_underflow 0
		.amdhsa_exception_fp_ieee_inexact 0
		.amdhsa_exception_int_div_zero 0
	.end_amdhsa_kernel
	.section	.text._ZN9rocsparseL22dense_transpose_kernelILj32ELj8Ei21rocsparse_complex_numIfEPKS2_EEvT1_S5_T3_PKT2_lPS7_l,"axG",@progbits,_ZN9rocsparseL22dense_transpose_kernelILj32ELj8Ei21rocsparse_complex_numIfEPKS2_EEvT1_S5_T3_PKT2_lPS7_l,comdat
.Lfunc_end5:
	.size	_ZN9rocsparseL22dense_transpose_kernelILj32ELj8Ei21rocsparse_complex_numIfEPKS2_EEvT1_S5_T3_PKT2_lPS7_l, .Lfunc_end5-_ZN9rocsparseL22dense_transpose_kernelILj32ELj8Ei21rocsparse_complex_numIfEPKS2_EEvT1_S5_T3_PKT2_lPS7_l
                                        ; -- End function
	.set _ZN9rocsparseL22dense_transpose_kernelILj32ELj8Ei21rocsparse_complex_numIfEPKS2_EEvT1_S5_T3_PKT2_lPS7_l.num_vgpr, 21
	.set _ZN9rocsparseL22dense_transpose_kernelILj32ELj8Ei21rocsparse_complex_numIfEPKS2_EEvT1_S5_T3_PKT2_lPS7_l.num_agpr, 0
	.set _ZN9rocsparseL22dense_transpose_kernelILj32ELj8Ei21rocsparse_complex_numIfEPKS2_EEvT1_S5_T3_PKT2_lPS7_l.numbered_sgpr, 22
	.set _ZN9rocsparseL22dense_transpose_kernelILj32ELj8Ei21rocsparse_complex_numIfEPKS2_EEvT1_S5_T3_PKT2_lPS7_l.num_named_barrier, 0
	.set _ZN9rocsparseL22dense_transpose_kernelILj32ELj8Ei21rocsparse_complex_numIfEPKS2_EEvT1_S5_T3_PKT2_lPS7_l.private_seg_size, 0
	.set _ZN9rocsparseL22dense_transpose_kernelILj32ELj8Ei21rocsparse_complex_numIfEPKS2_EEvT1_S5_T3_PKT2_lPS7_l.uses_vcc, 1
	.set _ZN9rocsparseL22dense_transpose_kernelILj32ELj8Ei21rocsparse_complex_numIfEPKS2_EEvT1_S5_T3_PKT2_lPS7_l.uses_flat_scratch, 0
	.set _ZN9rocsparseL22dense_transpose_kernelILj32ELj8Ei21rocsparse_complex_numIfEPKS2_EEvT1_S5_T3_PKT2_lPS7_l.has_dyn_sized_stack, 0
	.set _ZN9rocsparseL22dense_transpose_kernelILj32ELj8Ei21rocsparse_complex_numIfEPKS2_EEvT1_S5_T3_PKT2_lPS7_l.has_recursion, 0
	.set _ZN9rocsparseL22dense_transpose_kernelILj32ELj8Ei21rocsparse_complex_numIfEPKS2_EEvT1_S5_T3_PKT2_lPS7_l.has_indirect_call, 0
	.section	.AMDGPU.csdata,"",@progbits
; Kernel info:
; codeLenInByte = 1068
; TotalNumSgprs: 26
; NumVgprs: 21
; ScratchSize: 0
; MemoryBound: 0
; FloatMode: 240
; IeeeMode: 1
; LDSByteSize: 8192 bytes/workgroup (compile time only)
; SGPRBlocks: 8
; VGPRBlocks: 7
; NumSGPRsForWavesPerEU: 65
; NumVGPRsForWavesPerEU: 29
; Occupancy: 8
; WaveLimiterHint : 0
; COMPUTE_PGM_RSRC2:SCRATCH_EN: 0
; COMPUTE_PGM_RSRC2:USER_SGPR: 6
; COMPUTE_PGM_RSRC2:TRAP_HANDLER: 0
; COMPUTE_PGM_RSRC2:TGID_X_EN: 1
; COMPUTE_PGM_RSRC2:TGID_Y_EN: 0
; COMPUTE_PGM_RSRC2:TGID_Z_EN: 0
; COMPUTE_PGM_RSRC2:TIDIG_COMP_CNT: 0
	.section	.text._ZN9rocsparseL22dense_transpose_kernelILj32ELj8Ei21rocsparse_complex_numIdES2_EEvT1_S3_T3_PKT2_lPS5_l,"axG",@progbits,_ZN9rocsparseL22dense_transpose_kernelILj32ELj8Ei21rocsparse_complex_numIdES2_EEvT1_S3_T3_PKT2_lPS5_l,comdat
	.globl	_ZN9rocsparseL22dense_transpose_kernelILj32ELj8Ei21rocsparse_complex_numIdES2_EEvT1_S3_T3_PKT2_lPS5_l ; -- Begin function _ZN9rocsparseL22dense_transpose_kernelILj32ELj8Ei21rocsparse_complex_numIdES2_EEvT1_S3_T3_PKT2_lPS5_l
	.p2align	8
	.type	_ZN9rocsparseL22dense_transpose_kernelILj32ELj8Ei21rocsparse_complex_numIdES2_EEvT1_S3_T3_PKT2_lPS5_l,@function
_ZN9rocsparseL22dense_transpose_kernelILj32ELj8Ei21rocsparse_complex_numIdES2_EEvT1_S3_T3_PKT2_lPS5_l: ; @_ZN9rocsparseL22dense_transpose_kernelILj32ELj8Ei21rocsparse_complex_numIdES2_EEvT1_S3_T3_PKT2_lPS5_l
; %bb.0:
	s_load_dwordx2 s[24:25], s[4:5], 0x0
	s_waitcnt lgkmcnt(0)
	s_cmp_lt_i32 s25, 1
	s_cbranch_scc1 .LBB6_20
; %bb.1:
	v_and_b32_e32 v8, 31, v0
	s_lshl_b32 s0, s6, 5
	s_load_dwordx8 s[12:19], s[4:5], 0x8
	s_load_dwordx4 s[20:23], s[4:5], 0x28
	v_lshrrev_b32_e32 v9, 5, v0
	v_or_b32_e32 v0, s0, v8
	v_ashrrev_i32_e32 v1, 31, v0
	v_cmp_gt_i32_e32 vcc, s24, v0
	v_lshlrev_b64 v[0:1], 4, v[0:1]
	v_or_b32_e32 v7, s0, v9
	s_waitcnt lgkmcnt(0)
	v_add_co_u32_e64 v10, s[0:1], s16, v0
	v_lshlrev_b32_e32 v0, 4, v8
	v_mov_b32_e32 v2, s17
	v_lshl_or_b32 v12, v9, 9, v0
	v_lshlrev_b32_e32 v0, 4, v9
	v_or_b32_e32 v17, 8, v7
	v_addc_co_u32_e64 v11, s[0:1], v2, v1, s[0:1]
	v_lshl_or_b32 v13, v8, 9, v0
	v_mad_u64_u32 v[0:1], s[0:1], s22, v7, 0
	v_mad_u64_u32 v[2:3], s[0:1], s22, v17, 0
	v_or_b32_e32 v20, 16, v7
	v_or_b32_e32 v21, 24, v7
	v_mad_u64_u32 v[4:5], s[0:1], s23, v7, v[1:2]
	v_mov_b32_e32 v1, v3
	v_mad_u64_u32 v[5:6], s[0:1], s23, v17, v[1:2]
	v_cmp_le_u32_e64 s[0:1], s24, v7
	v_mov_b32_e32 v1, v4
	v_mov_b32_e32 v3, v5
	v_mad_u64_u32 v[4:5], s[4:5], s22, v20, 0
	v_mad_u64_u32 v[6:7], s[4:5], s22, v21, 0
	v_cmp_le_u32_e64 s[2:3], s24, v17
	v_lshlrev_b64 v[0:1], 4, v[0:1]
	v_mad_u64_u32 v[17:18], s[4:5], s23, v20, v[5:6]
	v_mov_b32_e32 v5, v7
	v_mad_u64_u32 v[18:19], s[4:5], s23, v21, v[5:6]
	v_mov_b32_e32 v5, v17
	v_lshlrev_b64 v[2:3], 4, v[2:3]
	v_mov_b32_e32 v7, v18
	v_lshlrev_b64 v[4:5], 4, v[4:5]
	v_lshlrev_b64 v[6:7], 4, v[6:7]
	v_or_b32_e32 v14, 0x1000, v12
	v_or_b32_e32 v15, 0x2000, v12
	;; [unrolled: 1-line block ×3, first 2 shown]
	v_cmp_le_u32_e64 s[4:5], s24, v20
	v_cmp_le_u32_e64 s[6:7], s24, v21
	s_mov_b32 s22, 0
	v_mov_b32_e32 v17, s21
	s_branch .LBB6_3
.LBB6_2:                                ;   in Loop: Header=BB6_3 Depth=1
	s_or_b64 exec, exec, s[10:11]
	s_add_i32 s22, s22, 32
	s_cmp_lt_i32 s22, s25
	s_cbranch_scc0 .LBB6_20
.LBB6_3:                                ; =>This Inner Loop Header: Depth=1
	v_add_u32_e32 v18, s22, v9
	v_cmp_gt_u32_e64 s[8:9], s25, v18
	s_and_b64 s[8:9], vcc, s[8:9]
	s_waitcnt vmcnt(0)
	s_barrier
	s_and_saveexec_b64 s[10:11], s[8:9]
	s_cbranch_execz .LBB6_5
; %bb.4:                                ;   in Loop: Header=BB6_3 Depth=1
	v_mad_u64_u32 v[19:20], s[8:9], s18, v18, 0
	v_mad_u64_u32 v[20:21], s[8:9], s19, v18, v[20:21]
	v_lshlrev_b64 v[19:20], 4, v[19:20]
	v_add_co_u32_e64 v19, s[8:9], v10, v19
	v_addc_co_u32_e64 v20, s[8:9], v11, v20, s[8:9]
	global_load_dwordx4 v[19:22], v[19:20], off
	s_waitcnt vmcnt(0)
	ds_write2_b64 v12, v[19:20], v[21:22] offset1:1
.LBB6_5:                                ;   in Loop: Header=BB6_3 Depth=1
	s_or_b64 exec, exec, s[10:11]
	s_and_saveexec_b64 s[10:11], vcc
	s_cbranch_execz .LBB6_12
; %bb.6:                                ;   in Loop: Header=BB6_3 Depth=1
	v_add_u32_e32 v19, 8, v18
	v_cmp_gt_u32_e64 s[8:9], s25, v19
	s_and_saveexec_b64 s[16:17], s[8:9]
	s_cbranch_execz .LBB6_8
; %bb.7:                                ;   in Loop: Header=BB6_3 Depth=1
	v_mad_u64_u32 v[20:21], s[8:9], s18, v19, 0
	v_mad_u64_u32 v[21:22], s[8:9], s19, v19, v[21:22]
	v_lshlrev_b64 v[19:20], 4, v[20:21]
	v_add_co_u32_e64 v19, s[8:9], v10, v19
	v_addc_co_u32_e64 v20, s[8:9], v11, v20, s[8:9]
	global_load_dwordx4 v[19:22], v[19:20], off
	s_waitcnt vmcnt(0)
	ds_write2_b64 v14, v[19:20], v[21:22] offset1:1
.LBB6_8:                                ;   in Loop: Header=BB6_3 Depth=1
	s_or_b64 exec, exec, s[16:17]
	v_add_u32_e32 v19, 16, v18
	v_cmp_gt_u32_e64 s[8:9], s25, v19
	s_and_saveexec_b64 s[16:17], s[8:9]
	s_cbranch_execz .LBB6_10
; %bb.9:                                ;   in Loop: Header=BB6_3 Depth=1
	v_mad_u64_u32 v[20:21], s[8:9], s18, v19, 0
	v_mad_u64_u32 v[21:22], s[8:9], s19, v19, v[21:22]
	v_lshlrev_b64 v[19:20], 4, v[20:21]
	v_add_co_u32_e64 v19, s[8:9], v10, v19
	v_addc_co_u32_e64 v20, s[8:9], v11, v20, s[8:9]
	global_load_dwordx4 v[19:22], v[19:20], off
	s_waitcnt vmcnt(0)
	ds_write2_b64 v15, v[19:20], v[21:22] offset1:1
.LBB6_10:                               ;   in Loop: Header=BB6_3 Depth=1
	s_or_b64 exec, exec, s[16:17]
	v_add_u32_e32 v18, 24, v18
	v_cmp_gt_u32_e64 s[8:9], s25, v18
	s_and_b64 exec, exec, s[8:9]
	s_cbranch_execz .LBB6_12
; %bb.11:                               ;   in Loop: Header=BB6_3 Depth=1
	v_mad_u64_u32 v[19:20], s[8:9], s18, v18, 0
	v_mad_u64_u32 v[20:21], s[8:9], s19, v18, v[20:21]
	v_lshlrev_b64 v[18:19], 4, v[19:20]
	v_add_co_u32_e64 v18, s[8:9], v10, v18
	v_addc_co_u32_e64 v19, s[8:9], v11, v19, s[8:9]
	global_load_dwordx4 v[18:21], v[18:19], off
	s_waitcnt vmcnt(0)
	ds_write2_b64 v16, v[18:19], v[20:21] offset1:1
.LBB6_12:                               ;   in Loop: Header=BB6_3 Depth=1
	s_or_b64 exec, exec, s[10:11]
	v_add_u32_e32 v18, s22, v8
	v_ashrrev_i32_e32 v19, 31, v18
	v_cmp_le_i32_e64 s[8:9], s25, v18
	v_lshlrev_b64 v[18:19], 4, v[18:19]
	s_waitcnt lgkmcnt(0)
	v_add_co_u32_e64 v18, s[10:11], s20, v18
	v_addc_co_u32_e64 v19, s[10:11], v17, v19, s[10:11]
	s_nor_b64 s[10:11], s[8:9], s[0:1]
	s_barrier
	s_and_saveexec_b64 s[16:17], s[10:11]
	s_cbranch_execnz .LBB6_16
; %bb.13:                               ;   in Loop: Header=BB6_3 Depth=1
	s_or_b64 exec, exec, s[16:17]
	s_nor_b64 s[10:11], s[8:9], s[2:3]
	s_and_saveexec_b64 s[16:17], s[10:11]
	s_cbranch_execnz .LBB6_17
.LBB6_14:                               ;   in Loop: Header=BB6_3 Depth=1
	s_or_b64 exec, exec, s[16:17]
	s_nor_b64 s[10:11], s[8:9], s[4:5]
	s_and_saveexec_b64 s[16:17], s[10:11]
	s_cbranch_execnz .LBB6_18
.LBB6_15:                               ;   in Loop: Header=BB6_3 Depth=1
	s_or_b64 exec, exec, s[16:17]
	s_nor_b64 s[8:9], s[8:9], s[6:7]
	s_and_saveexec_b64 s[10:11], s[8:9]
	s_cbranch_execz .LBB6_2
	s_branch .LBB6_19
.LBB6_16:                               ;   in Loop: Header=BB6_3 Depth=1
	ds_read_b128 v[20:23], v13
	s_waitcnt lgkmcnt(0)
	v_mul_f64 v[24:25], v[22:23], -s[14:15]
	v_mul_f64 v[26:27], s[12:13], v[22:23]
	v_fma_f64 v[22:23], s[12:13], v[20:21], v[24:25]
	v_fma_f64 v[24:25], s[14:15], v[20:21], v[26:27]
	v_add_co_u32_e64 v20, s[10:11], v18, v0
	v_addc_co_u32_e64 v21, s[10:11], v19, v1, s[10:11]
	global_store_dwordx4 v[20:21], v[22:25], off
	s_or_b64 exec, exec, s[16:17]
	s_nor_b64 s[10:11], s[8:9], s[2:3]
	s_and_saveexec_b64 s[16:17], s[10:11]
	s_cbranch_execz .LBB6_14
.LBB6_17:                               ;   in Loop: Header=BB6_3 Depth=1
	ds_read_b128 v[20:23], v13 offset:128
	s_waitcnt lgkmcnt(0)
	v_mul_f64 v[24:25], v[22:23], -s[14:15]
	v_mul_f64 v[26:27], s[12:13], v[22:23]
	v_fma_f64 v[22:23], s[12:13], v[20:21], v[24:25]
	v_fma_f64 v[24:25], s[14:15], v[20:21], v[26:27]
	v_add_co_u32_e64 v20, s[10:11], v18, v2
	v_addc_co_u32_e64 v21, s[10:11], v19, v3, s[10:11]
	global_store_dwordx4 v[20:21], v[22:25], off
	s_or_b64 exec, exec, s[16:17]
	s_nor_b64 s[10:11], s[8:9], s[4:5]
	s_and_saveexec_b64 s[16:17], s[10:11]
	s_cbranch_execz .LBB6_15
.LBB6_18:                               ;   in Loop: Header=BB6_3 Depth=1
	ds_read_b128 v[20:23], v13 offset:256
	s_waitcnt lgkmcnt(0)
	v_mul_f64 v[24:25], v[22:23], -s[14:15]
	v_mul_f64 v[26:27], s[12:13], v[22:23]
	v_fma_f64 v[22:23], s[12:13], v[20:21], v[24:25]
	v_fma_f64 v[24:25], s[14:15], v[20:21], v[26:27]
	v_add_co_u32_e64 v20, s[10:11], v18, v4
	v_addc_co_u32_e64 v21, s[10:11], v19, v5, s[10:11]
	global_store_dwordx4 v[20:21], v[22:25], off
	s_or_b64 exec, exec, s[16:17]
	s_nor_b64 s[8:9], s[8:9], s[6:7]
	s_and_saveexec_b64 s[10:11], s[8:9]
	s_cbranch_execz .LBB6_2
.LBB6_19:                               ;   in Loop: Header=BB6_3 Depth=1
	ds_read_b128 v[20:23], v13 offset:384
	v_add_co_u32_e64 v18, s[8:9], v18, v6
	v_addc_co_u32_e64 v19, s[8:9], v19, v7, s[8:9]
	s_waitcnt lgkmcnt(0)
	v_mul_f64 v[24:25], v[22:23], -s[14:15]
	v_mul_f64 v[26:27], s[12:13], v[22:23]
	v_fma_f64 v[22:23], s[12:13], v[20:21], v[24:25]
	v_fma_f64 v[24:25], s[14:15], v[20:21], v[26:27]
	global_store_dwordx4 v[18:19], v[22:25], off
	s_branch .LBB6_2
.LBB6_20:
	s_endpgm
	.section	.rodata,"a",@progbits
	.p2align	6, 0x0
	.amdhsa_kernel _ZN9rocsparseL22dense_transpose_kernelILj32ELj8Ei21rocsparse_complex_numIdES2_EEvT1_S3_T3_PKT2_lPS5_l
		.amdhsa_group_segment_fixed_size 16384
		.amdhsa_private_segment_fixed_size 0
		.amdhsa_kernarg_size 56
		.amdhsa_user_sgpr_count 6
		.amdhsa_user_sgpr_private_segment_buffer 1
		.amdhsa_user_sgpr_dispatch_ptr 0
		.amdhsa_user_sgpr_queue_ptr 0
		.amdhsa_user_sgpr_kernarg_segment_ptr 1
		.amdhsa_user_sgpr_dispatch_id 0
		.amdhsa_user_sgpr_flat_scratch_init 0
		.amdhsa_user_sgpr_private_segment_size 0
		.amdhsa_uses_dynamic_stack 0
		.amdhsa_system_sgpr_private_segment_wavefront_offset 0
		.amdhsa_system_sgpr_workgroup_id_x 1
		.amdhsa_system_sgpr_workgroup_id_y 0
		.amdhsa_system_sgpr_workgroup_id_z 0
		.amdhsa_system_sgpr_workgroup_info 0
		.amdhsa_system_vgpr_workitem_id 0
		.amdhsa_next_free_vgpr 49
		.amdhsa_next_free_sgpr 98
		.amdhsa_reserve_vcc 1
		.amdhsa_reserve_flat_scratch 0
		.amdhsa_float_round_mode_32 0
		.amdhsa_float_round_mode_16_64 0
		.amdhsa_float_denorm_mode_32 3
		.amdhsa_float_denorm_mode_16_64 3
		.amdhsa_dx10_clamp 1
		.amdhsa_ieee_mode 1
		.amdhsa_fp16_overflow 0
		.amdhsa_exception_fp_ieee_invalid_op 0
		.amdhsa_exception_fp_denorm_src 0
		.amdhsa_exception_fp_ieee_div_zero 0
		.amdhsa_exception_fp_ieee_overflow 0
		.amdhsa_exception_fp_ieee_underflow 0
		.amdhsa_exception_fp_ieee_inexact 0
		.amdhsa_exception_int_div_zero 0
	.end_amdhsa_kernel
	.section	.text._ZN9rocsparseL22dense_transpose_kernelILj32ELj8Ei21rocsparse_complex_numIdES2_EEvT1_S3_T3_PKT2_lPS5_l,"axG",@progbits,_ZN9rocsparseL22dense_transpose_kernelILj32ELj8Ei21rocsparse_complex_numIdES2_EEvT1_S3_T3_PKT2_lPS5_l,comdat
.Lfunc_end6:
	.size	_ZN9rocsparseL22dense_transpose_kernelILj32ELj8Ei21rocsparse_complex_numIdES2_EEvT1_S3_T3_PKT2_lPS5_l, .Lfunc_end6-_ZN9rocsparseL22dense_transpose_kernelILj32ELj8Ei21rocsparse_complex_numIdES2_EEvT1_S3_T3_PKT2_lPS5_l
                                        ; -- End function
	.set _ZN9rocsparseL22dense_transpose_kernelILj32ELj8Ei21rocsparse_complex_numIdES2_EEvT1_S3_T3_PKT2_lPS5_l.num_vgpr, 28
	.set _ZN9rocsparseL22dense_transpose_kernelILj32ELj8Ei21rocsparse_complex_numIdES2_EEvT1_S3_T3_PKT2_lPS5_l.num_agpr, 0
	.set _ZN9rocsparseL22dense_transpose_kernelILj32ELj8Ei21rocsparse_complex_numIdES2_EEvT1_S3_T3_PKT2_lPS5_l.numbered_sgpr, 26
	.set _ZN9rocsparseL22dense_transpose_kernelILj32ELj8Ei21rocsparse_complex_numIdES2_EEvT1_S3_T3_PKT2_lPS5_l.num_named_barrier, 0
	.set _ZN9rocsparseL22dense_transpose_kernelILj32ELj8Ei21rocsparse_complex_numIdES2_EEvT1_S3_T3_PKT2_lPS5_l.private_seg_size, 0
	.set _ZN9rocsparseL22dense_transpose_kernelILj32ELj8Ei21rocsparse_complex_numIdES2_EEvT1_S3_T3_PKT2_lPS5_l.uses_vcc, 1
	.set _ZN9rocsparseL22dense_transpose_kernelILj32ELj8Ei21rocsparse_complex_numIdES2_EEvT1_S3_T3_PKT2_lPS5_l.uses_flat_scratch, 0
	.set _ZN9rocsparseL22dense_transpose_kernelILj32ELj8Ei21rocsparse_complex_numIdES2_EEvT1_S3_T3_PKT2_lPS5_l.has_dyn_sized_stack, 0
	.set _ZN9rocsparseL22dense_transpose_kernelILj32ELj8Ei21rocsparse_complex_numIdES2_EEvT1_S3_T3_PKT2_lPS5_l.has_recursion, 0
	.set _ZN9rocsparseL22dense_transpose_kernelILj32ELj8Ei21rocsparse_complex_numIdES2_EEvT1_S3_T3_PKT2_lPS5_l.has_indirect_call, 0
	.section	.AMDGPU.csdata,"",@progbits
; Kernel info:
; codeLenInByte = 1132
; TotalNumSgprs: 30
; NumVgprs: 28
; ScratchSize: 0
; MemoryBound: 0
; FloatMode: 240
; IeeeMode: 1
; LDSByteSize: 16384 bytes/workgroup (compile time only)
; SGPRBlocks: 12
; VGPRBlocks: 12
; NumSGPRsForWavesPerEU: 102
; NumVGPRsForWavesPerEU: 49
; Occupancy: 4
; WaveLimiterHint : 0
; COMPUTE_PGM_RSRC2:SCRATCH_EN: 0
; COMPUTE_PGM_RSRC2:USER_SGPR: 6
; COMPUTE_PGM_RSRC2:TRAP_HANDLER: 0
; COMPUTE_PGM_RSRC2:TGID_X_EN: 1
; COMPUTE_PGM_RSRC2:TGID_Y_EN: 0
; COMPUTE_PGM_RSRC2:TGID_Z_EN: 0
; COMPUTE_PGM_RSRC2:TIDIG_COMP_CNT: 0
	.section	.text._ZN9rocsparseL22dense_transpose_kernelILj32ELj8Ei21rocsparse_complex_numIdEPKS2_EEvT1_S5_T3_PKT2_lPS7_l,"axG",@progbits,_ZN9rocsparseL22dense_transpose_kernelILj32ELj8Ei21rocsparse_complex_numIdEPKS2_EEvT1_S5_T3_PKT2_lPS7_l,comdat
	.globl	_ZN9rocsparseL22dense_transpose_kernelILj32ELj8Ei21rocsparse_complex_numIdEPKS2_EEvT1_S5_T3_PKT2_lPS7_l ; -- Begin function _ZN9rocsparseL22dense_transpose_kernelILj32ELj8Ei21rocsparse_complex_numIdEPKS2_EEvT1_S5_T3_PKT2_lPS7_l
	.p2align	8
	.type	_ZN9rocsparseL22dense_transpose_kernelILj32ELj8Ei21rocsparse_complex_numIdEPKS2_EEvT1_S5_T3_PKT2_lPS7_l,@function
_ZN9rocsparseL22dense_transpose_kernelILj32ELj8Ei21rocsparse_complex_numIdEPKS2_EEvT1_S5_T3_PKT2_lPS7_l: ; @_ZN9rocsparseL22dense_transpose_kernelILj32ELj8Ei21rocsparse_complex_numIdEPKS2_EEvT1_S5_T3_PKT2_lPS7_l
; %bb.0:
	s_load_dwordx2 s[20:21], s[4:5], 0x0
	s_waitcnt lgkmcnt(0)
	s_cmp_lt_i32 s21, 1
	s_cbranch_scc1 .LBB7_20
; %bb.1:
	v_and_b32_e32 v8, 31, v0
	s_lshl_b32 s0, s6, 5
	s_load_dwordx8 s[8:15], s[4:5], 0x8
	s_load_dwordx2 s[22:23], s[4:5], 0x28
	v_lshrrev_b32_e32 v9, 5, v0
	v_or_b32_e32 v0, s0, v8
	v_ashrrev_i32_e32 v1, 31, v0
	v_cmp_gt_i32_e32 vcc, s20, v0
	v_lshlrev_b64 v[0:1], 4, v[0:1]
	v_or_b32_e32 v7, s0, v9
	s_waitcnt lgkmcnt(0)
	v_add_co_u32_e64 v10, s[0:1], s10, v0
	v_lshlrev_b32_e32 v0, 4, v8
	v_mov_b32_e32 v2, s11
	v_lshl_or_b32 v12, v9, 9, v0
	v_lshlrev_b32_e32 v0, 4, v9
	v_or_b32_e32 v17, 8, v7
	v_addc_co_u32_e64 v11, s[0:1], v2, v1, s[0:1]
	v_lshl_or_b32 v13, v8, 9, v0
	v_mad_u64_u32 v[0:1], s[0:1], s22, v7, 0
	v_mad_u64_u32 v[2:3], s[0:1], s22, v17, 0
	v_or_b32_e32 v20, 16, v7
	v_or_b32_e32 v21, 24, v7
	v_mad_u64_u32 v[4:5], s[0:1], s23, v7, v[1:2]
	v_mov_b32_e32 v1, v3
	v_mad_u64_u32 v[5:6], s[0:1], s23, v17, v[1:2]
	v_cmp_le_u32_e64 s[0:1], s20, v7
	v_mov_b32_e32 v1, v4
	v_mov_b32_e32 v3, v5
	v_mad_u64_u32 v[4:5], s[4:5], s22, v20, 0
	v_mad_u64_u32 v[6:7], s[4:5], s22, v21, 0
	v_cmp_le_u32_e64 s[2:3], s20, v17
	s_load_dwordx4 s[16:19], s[8:9], 0x0
	v_mad_u64_u32 v[17:18], s[4:5], s23, v20, v[5:6]
	v_mov_b32_e32 v5, v7
	v_mad_u64_u32 v[18:19], s[4:5], s23, v21, v[5:6]
	v_mov_b32_e32 v5, v17
	v_lshlrev_b64 v[0:1], 4, v[0:1]
	v_mov_b32_e32 v7, v18
	v_lshlrev_b64 v[2:3], 4, v[2:3]
	v_lshlrev_b64 v[4:5], 4, v[4:5]
	;; [unrolled: 1-line block ×3, first 2 shown]
	v_or_b32_e32 v14, 0x1000, v12
	v_or_b32_e32 v15, 0x2000, v12
	;; [unrolled: 1-line block ×3, first 2 shown]
	v_cmp_le_u32_e64 s[4:5], s20, v20
	v_cmp_le_u32_e64 s[6:7], s20, v21
	s_mov_b32 s20, 0
	v_mov_b32_e32 v17, s15
	s_branch .LBB7_3
.LBB7_2:                                ;   in Loop: Header=BB7_3 Depth=1
	s_or_b64 exec, exec, s[10:11]
	s_add_i32 s20, s20, 32
	s_cmp_lt_i32 s20, s21
	s_cbranch_scc0 .LBB7_20
.LBB7_3:                                ; =>This Inner Loop Header: Depth=1
	v_add_u32_e32 v18, s20, v9
	v_cmp_gt_u32_e64 s[8:9], s21, v18
	s_and_b64 s[8:9], vcc, s[8:9]
	s_waitcnt vmcnt(0) lgkmcnt(0)
	s_barrier
	s_and_saveexec_b64 s[10:11], s[8:9]
	s_cbranch_execz .LBB7_5
; %bb.4:                                ;   in Loop: Header=BB7_3 Depth=1
	v_mad_u64_u32 v[19:20], s[8:9], s12, v18, 0
	v_mad_u64_u32 v[20:21], s[8:9], s13, v18, v[20:21]
	v_lshlrev_b64 v[19:20], 4, v[19:20]
	v_add_co_u32_e64 v19, s[8:9], v10, v19
	v_addc_co_u32_e64 v20, s[8:9], v11, v20, s[8:9]
	global_load_dwordx4 v[19:22], v[19:20], off
	s_waitcnt vmcnt(0)
	ds_write2_b64 v12, v[19:20], v[21:22] offset1:1
.LBB7_5:                                ;   in Loop: Header=BB7_3 Depth=1
	s_or_b64 exec, exec, s[10:11]
	s_and_saveexec_b64 s[10:11], vcc
	s_cbranch_execz .LBB7_12
; %bb.6:                                ;   in Loop: Header=BB7_3 Depth=1
	v_add_u32_e32 v19, 8, v18
	v_cmp_gt_u32_e64 s[8:9], s21, v19
	s_and_saveexec_b64 s[22:23], s[8:9]
	s_cbranch_execz .LBB7_8
; %bb.7:                                ;   in Loop: Header=BB7_3 Depth=1
	v_mad_u64_u32 v[20:21], s[8:9], s12, v19, 0
	v_mad_u64_u32 v[21:22], s[8:9], s13, v19, v[21:22]
	v_lshlrev_b64 v[19:20], 4, v[20:21]
	v_add_co_u32_e64 v19, s[8:9], v10, v19
	v_addc_co_u32_e64 v20, s[8:9], v11, v20, s[8:9]
	global_load_dwordx4 v[19:22], v[19:20], off
	s_waitcnt vmcnt(0)
	ds_write2_b64 v14, v[19:20], v[21:22] offset1:1
.LBB7_8:                                ;   in Loop: Header=BB7_3 Depth=1
	s_or_b64 exec, exec, s[22:23]
	v_add_u32_e32 v19, 16, v18
	v_cmp_gt_u32_e64 s[8:9], s21, v19
	s_and_saveexec_b64 s[22:23], s[8:9]
	s_cbranch_execz .LBB7_10
; %bb.9:                                ;   in Loop: Header=BB7_3 Depth=1
	v_mad_u64_u32 v[20:21], s[8:9], s12, v19, 0
	v_mad_u64_u32 v[21:22], s[8:9], s13, v19, v[21:22]
	v_lshlrev_b64 v[19:20], 4, v[20:21]
	v_add_co_u32_e64 v19, s[8:9], v10, v19
	v_addc_co_u32_e64 v20, s[8:9], v11, v20, s[8:9]
	global_load_dwordx4 v[19:22], v[19:20], off
	s_waitcnt vmcnt(0)
	ds_write2_b64 v15, v[19:20], v[21:22] offset1:1
.LBB7_10:                               ;   in Loop: Header=BB7_3 Depth=1
	s_or_b64 exec, exec, s[22:23]
	v_add_u32_e32 v18, 24, v18
	v_cmp_gt_u32_e64 s[8:9], s21, v18
	s_and_b64 exec, exec, s[8:9]
	s_cbranch_execz .LBB7_12
; %bb.11:                               ;   in Loop: Header=BB7_3 Depth=1
	v_mad_u64_u32 v[19:20], s[8:9], s12, v18, 0
	v_mad_u64_u32 v[20:21], s[8:9], s13, v18, v[20:21]
	v_lshlrev_b64 v[18:19], 4, v[19:20]
	v_add_co_u32_e64 v18, s[8:9], v10, v18
	v_addc_co_u32_e64 v19, s[8:9], v11, v19, s[8:9]
	global_load_dwordx4 v[18:21], v[18:19], off
	s_waitcnt vmcnt(0)
	ds_write2_b64 v16, v[18:19], v[20:21] offset1:1
.LBB7_12:                               ;   in Loop: Header=BB7_3 Depth=1
	s_or_b64 exec, exec, s[10:11]
	v_add_u32_e32 v18, s20, v8
	v_ashrrev_i32_e32 v19, 31, v18
	v_cmp_le_i32_e64 s[8:9], s21, v18
	v_lshlrev_b64 v[18:19], 4, v[18:19]
	s_waitcnt lgkmcnt(0)
	v_add_co_u32_e64 v18, s[10:11], s14, v18
	v_addc_co_u32_e64 v19, s[10:11], v17, v19, s[10:11]
	s_nor_b64 s[10:11], s[8:9], s[0:1]
	s_barrier
	s_and_saveexec_b64 s[22:23], s[10:11]
	s_cbranch_execnz .LBB7_16
; %bb.13:                               ;   in Loop: Header=BB7_3 Depth=1
	s_or_b64 exec, exec, s[22:23]
	s_nor_b64 s[10:11], s[8:9], s[2:3]
	s_and_saveexec_b64 s[22:23], s[10:11]
	s_cbranch_execnz .LBB7_17
.LBB7_14:                               ;   in Loop: Header=BB7_3 Depth=1
	s_or_b64 exec, exec, s[22:23]
	s_nor_b64 s[10:11], s[8:9], s[4:5]
	s_and_saveexec_b64 s[22:23], s[10:11]
	s_cbranch_execnz .LBB7_18
.LBB7_15:                               ;   in Loop: Header=BB7_3 Depth=1
	s_or_b64 exec, exec, s[22:23]
	s_nor_b64 s[8:9], s[8:9], s[6:7]
	s_and_saveexec_b64 s[10:11], s[8:9]
	s_cbranch_execz .LBB7_2
	s_branch .LBB7_19
.LBB7_16:                               ;   in Loop: Header=BB7_3 Depth=1
	ds_read_b128 v[20:23], v13
	s_waitcnt lgkmcnt(0)
	v_mul_f64 v[24:25], v[22:23], -s[18:19]
	v_mul_f64 v[26:27], s[16:17], v[22:23]
	v_fma_f64 v[22:23], s[16:17], v[20:21], v[24:25]
	v_fma_f64 v[24:25], s[18:19], v[20:21], v[26:27]
	v_add_co_u32_e64 v20, s[10:11], v18, v0
	v_addc_co_u32_e64 v21, s[10:11], v19, v1, s[10:11]
	global_store_dwordx4 v[20:21], v[22:25], off
	s_or_b64 exec, exec, s[22:23]
	s_nor_b64 s[10:11], s[8:9], s[2:3]
	s_and_saveexec_b64 s[22:23], s[10:11]
	s_cbranch_execz .LBB7_14
.LBB7_17:                               ;   in Loop: Header=BB7_3 Depth=1
	ds_read_b128 v[20:23], v13 offset:128
	s_waitcnt lgkmcnt(0)
	v_mul_f64 v[24:25], v[22:23], -s[18:19]
	v_mul_f64 v[26:27], s[16:17], v[22:23]
	v_fma_f64 v[22:23], s[16:17], v[20:21], v[24:25]
	v_fma_f64 v[24:25], s[18:19], v[20:21], v[26:27]
	v_add_co_u32_e64 v20, s[10:11], v18, v2
	v_addc_co_u32_e64 v21, s[10:11], v19, v3, s[10:11]
	global_store_dwordx4 v[20:21], v[22:25], off
	s_or_b64 exec, exec, s[22:23]
	s_nor_b64 s[10:11], s[8:9], s[4:5]
	s_and_saveexec_b64 s[22:23], s[10:11]
	s_cbranch_execz .LBB7_15
.LBB7_18:                               ;   in Loop: Header=BB7_3 Depth=1
	ds_read_b128 v[20:23], v13 offset:256
	s_waitcnt lgkmcnt(0)
	v_mul_f64 v[24:25], v[22:23], -s[18:19]
	v_mul_f64 v[26:27], s[16:17], v[22:23]
	v_fma_f64 v[22:23], s[16:17], v[20:21], v[24:25]
	v_fma_f64 v[24:25], s[18:19], v[20:21], v[26:27]
	v_add_co_u32_e64 v20, s[10:11], v18, v4
	v_addc_co_u32_e64 v21, s[10:11], v19, v5, s[10:11]
	global_store_dwordx4 v[20:21], v[22:25], off
	s_or_b64 exec, exec, s[22:23]
	s_nor_b64 s[8:9], s[8:9], s[6:7]
	s_and_saveexec_b64 s[10:11], s[8:9]
	s_cbranch_execz .LBB7_2
.LBB7_19:                               ;   in Loop: Header=BB7_3 Depth=1
	ds_read_b128 v[20:23], v13 offset:384
	v_add_co_u32_e64 v18, s[8:9], v18, v6
	v_addc_co_u32_e64 v19, s[8:9], v19, v7, s[8:9]
	s_waitcnt lgkmcnt(0)
	v_mul_f64 v[24:25], v[22:23], -s[18:19]
	v_mul_f64 v[26:27], s[16:17], v[22:23]
	v_fma_f64 v[22:23], s[16:17], v[20:21], v[24:25]
	v_fma_f64 v[24:25], s[18:19], v[20:21], v[26:27]
	global_store_dwordx4 v[18:19], v[22:25], off
	s_branch .LBB7_2
.LBB7_20:
	s_endpgm
	.section	.rodata,"a",@progbits
	.p2align	6, 0x0
	.amdhsa_kernel _ZN9rocsparseL22dense_transpose_kernelILj32ELj8Ei21rocsparse_complex_numIdEPKS2_EEvT1_S5_T3_PKT2_lPS7_l
		.amdhsa_group_segment_fixed_size 16384
		.amdhsa_private_segment_fixed_size 0
		.amdhsa_kernarg_size 48
		.amdhsa_user_sgpr_count 6
		.amdhsa_user_sgpr_private_segment_buffer 1
		.amdhsa_user_sgpr_dispatch_ptr 0
		.amdhsa_user_sgpr_queue_ptr 0
		.amdhsa_user_sgpr_kernarg_segment_ptr 1
		.amdhsa_user_sgpr_dispatch_id 0
		.amdhsa_user_sgpr_flat_scratch_init 0
		.amdhsa_user_sgpr_private_segment_size 0
		.amdhsa_uses_dynamic_stack 0
		.amdhsa_system_sgpr_private_segment_wavefront_offset 0
		.amdhsa_system_sgpr_workgroup_id_x 1
		.amdhsa_system_sgpr_workgroup_id_y 0
		.amdhsa_system_sgpr_workgroup_id_z 0
		.amdhsa_system_sgpr_workgroup_info 0
		.amdhsa_system_vgpr_workitem_id 0
		.amdhsa_next_free_vgpr 49
		.amdhsa_next_free_sgpr 98
		.amdhsa_reserve_vcc 1
		.amdhsa_reserve_flat_scratch 0
		.amdhsa_float_round_mode_32 0
		.amdhsa_float_round_mode_16_64 0
		.amdhsa_float_denorm_mode_32 3
		.amdhsa_float_denorm_mode_16_64 3
		.amdhsa_dx10_clamp 1
		.amdhsa_ieee_mode 1
		.amdhsa_fp16_overflow 0
		.amdhsa_exception_fp_ieee_invalid_op 0
		.amdhsa_exception_fp_denorm_src 0
		.amdhsa_exception_fp_ieee_div_zero 0
		.amdhsa_exception_fp_ieee_overflow 0
		.amdhsa_exception_fp_ieee_underflow 0
		.amdhsa_exception_fp_ieee_inexact 0
		.amdhsa_exception_int_div_zero 0
	.end_amdhsa_kernel
	.section	.text._ZN9rocsparseL22dense_transpose_kernelILj32ELj8Ei21rocsparse_complex_numIdEPKS2_EEvT1_S5_T3_PKT2_lPS7_l,"axG",@progbits,_ZN9rocsparseL22dense_transpose_kernelILj32ELj8Ei21rocsparse_complex_numIdEPKS2_EEvT1_S5_T3_PKT2_lPS7_l,comdat
.Lfunc_end7:
	.size	_ZN9rocsparseL22dense_transpose_kernelILj32ELj8Ei21rocsparse_complex_numIdEPKS2_EEvT1_S5_T3_PKT2_lPS7_l, .Lfunc_end7-_ZN9rocsparseL22dense_transpose_kernelILj32ELj8Ei21rocsparse_complex_numIdEPKS2_EEvT1_S5_T3_PKT2_lPS7_l
                                        ; -- End function
	.set _ZN9rocsparseL22dense_transpose_kernelILj32ELj8Ei21rocsparse_complex_numIdEPKS2_EEvT1_S5_T3_PKT2_lPS7_l.num_vgpr, 28
	.set _ZN9rocsparseL22dense_transpose_kernelILj32ELj8Ei21rocsparse_complex_numIdEPKS2_EEvT1_S5_T3_PKT2_lPS7_l.num_agpr, 0
	.set _ZN9rocsparseL22dense_transpose_kernelILj32ELj8Ei21rocsparse_complex_numIdEPKS2_EEvT1_S5_T3_PKT2_lPS7_l.numbered_sgpr, 24
	.set _ZN9rocsparseL22dense_transpose_kernelILj32ELj8Ei21rocsparse_complex_numIdEPKS2_EEvT1_S5_T3_PKT2_lPS7_l.num_named_barrier, 0
	.set _ZN9rocsparseL22dense_transpose_kernelILj32ELj8Ei21rocsparse_complex_numIdEPKS2_EEvT1_S5_T3_PKT2_lPS7_l.private_seg_size, 0
	.set _ZN9rocsparseL22dense_transpose_kernelILj32ELj8Ei21rocsparse_complex_numIdEPKS2_EEvT1_S5_T3_PKT2_lPS7_l.uses_vcc, 1
	.set _ZN9rocsparseL22dense_transpose_kernelILj32ELj8Ei21rocsparse_complex_numIdEPKS2_EEvT1_S5_T3_PKT2_lPS7_l.uses_flat_scratch, 0
	.set _ZN9rocsparseL22dense_transpose_kernelILj32ELj8Ei21rocsparse_complex_numIdEPKS2_EEvT1_S5_T3_PKT2_lPS7_l.has_dyn_sized_stack, 0
	.set _ZN9rocsparseL22dense_transpose_kernelILj32ELj8Ei21rocsparse_complex_numIdEPKS2_EEvT1_S5_T3_PKT2_lPS7_l.has_recursion, 0
	.set _ZN9rocsparseL22dense_transpose_kernelILj32ELj8Ei21rocsparse_complex_numIdEPKS2_EEvT1_S5_T3_PKT2_lPS7_l.has_indirect_call, 0
	.section	.AMDGPU.csdata,"",@progbits
; Kernel info:
; codeLenInByte = 1140
; TotalNumSgprs: 28
; NumVgprs: 28
; ScratchSize: 0
; MemoryBound: 0
; FloatMode: 240
; IeeeMode: 1
; LDSByteSize: 16384 bytes/workgroup (compile time only)
; SGPRBlocks: 12
; VGPRBlocks: 12
; NumSGPRsForWavesPerEU: 102
; NumVGPRsForWavesPerEU: 49
; Occupancy: 4
; WaveLimiterHint : 0
; COMPUTE_PGM_RSRC2:SCRATCH_EN: 0
; COMPUTE_PGM_RSRC2:USER_SGPR: 6
; COMPUTE_PGM_RSRC2:TRAP_HANDLER: 0
; COMPUTE_PGM_RSRC2:TGID_X_EN: 1
; COMPUTE_PGM_RSRC2:TGID_Y_EN: 0
; COMPUTE_PGM_RSRC2:TGID_Z_EN: 0
; COMPUTE_PGM_RSRC2:TIDIG_COMP_CNT: 0
	.section	.text._ZN9rocsparseL22dense_transpose_kernelILj32ELj8ElffEEvT1_S1_T3_PKT2_lPS3_l,"axG",@progbits,_ZN9rocsparseL22dense_transpose_kernelILj32ELj8ElffEEvT1_S1_T3_PKT2_lPS3_l,comdat
	.globl	_ZN9rocsparseL22dense_transpose_kernelILj32ELj8ElffEEvT1_S1_T3_PKT2_lPS3_l ; -- Begin function _ZN9rocsparseL22dense_transpose_kernelILj32ELj8ElffEEvT1_S1_T3_PKT2_lPS3_l
	.p2align	8
	.type	_ZN9rocsparseL22dense_transpose_kernelILj32ELj8ElffEEvT1_S1_T3_PKT2_lPS3_l,@function
_ZN9rocsparseL22dense_transpose_kernelILj32ELj8ElffEEvT1_S1_T3_PKT2_lPS3_l: ; @_ZN9rocsparseL22dense_transpose_kernelILj32ELj8ElffEEvT1_S1_T3_PKT2_lPS3_l
; %bb.0:
	s_load_dwordx4 s[20:23], s[4:5], 0x0
	s_waitcnt lgkmcnt(0)
	v_cmp_lt_i64_e64 s[0:1], s[22:23], 1
	s_and_b64 vcc, exec, s[0:1]
	s_cbranch_vccnz .LBB8_20
; %bb.1:
	s_load_dwordx8 s[12:19], s[4:5], 0x18
	s_lshl_b32 s0, s6, 5
	v_lshrrev_b32_e32 v10, 5, v0
	v_or_b32_e32 v1, s0, v10
	v_mov_b32_e32 v2, 0
	s_waitcnt lgkmcnt(0)
	v_mad_u64_u32 v[8:9], s[6:7], s18, v1, 0
	v_and_b32_e32 v11, 31, v0
	v_or_b32_e32 v5, 8, v1
	v_mov_b32_e32 v6, v2
	v_mov_b32_e32 v0, v9
	v_cmp_le_i64_e64 s[2:3], s[20:21], v[1:2]
	v_cmp_le_i64_e64 s[10:11], s[20:21], v[5:6]
	v_or_b32_e32 v6, 16, v1
	v_or_b32_e32 v16, 24, v1
	v_mad_u64_u32 v[0:1], s[8:9], s19, v1, v[0:1]
	v_or_b32_e32 v3, s0, v11
	v_mov_b32_e32 v4, v2
	v_mov_b32_e32 v7, v2
	;; [unrolled: 1-line block ×3, first 2 shown]
	v_cmp_gt_i64_e64 s[0:1], s[20:21], v[3:4]
	v_cmp_le_i64_e64 s[6:7], s[20:21], v[6:7]
	v_cmp_le_i64_e64 s[8:9], s[20:21], v[16:17]
	v_mad_u64_u32 v[1:2], s[20:21], s18, v5, 0
	v_mov_b32_e32 v9, v0
	v_lshlrev_b64 v[7:8], 2, v[8:9]
	v_mov_b32_e32 v0, v2
	v_mov_b32_e32 v9, s17
	v_mad_u64_u32 v[14:15], s[20:21], s19, v5, v[0:1]
	v_add_co_u32_e32 v12, vcc, s16, v7
	v_addc_co_u32_e32 v13, vcc, v9, v8, vcc
	v_mad_u64_u32 v[7:8], s[20:21], s18, v6, 0
	v_mov_b32_e32 v2, v14
	v_lshlrev_b64 v[0:1], 2, v[1:2]
	v_mov_b32_e32 v2, v8
	v_mad_u64_u32 v[5:6], s[20:21], s19, v6, v[2:3]
	v_add_co_u32_e32 v14, vcc, s16, v0
	v_addc_co_u32_e32 v15, vcc, v9, v1, vcc
	v_mad_u64_u32 v[0:1], s[20:21], s18, v16, 0
	v_mov_b32_e32 v8, v5
	v_lshlrev_b64 v[5:6], 2, v[7:8]
	v_mad_u64_u32 v[1:2], s[18:19], s19, v16, v[1:2]
	v_mov_b32_e32 v7, s17
	v_add_co_u32_e32 v16, vcc, s16, v5
	v_addc_co_u32_e32 v17, vcc, v7, v6, vcc
	v_mad_u64_u32 v[5:6], s[18:19], s14, v10, 0
	v_lshlrev_b64 v[0:1], 2, v[0:1]
	v_mov_b32_e32 v2, s17
	v_add_co_u32_e32 v18, vcc, s16, v0
	v_mov_b32_e32 v0, v6
	v_or_b32_e32 v9, 24, v10
	v_addc_co_u32_e32 v19, vcc, v2, v1, vcc
	v_mad_u64_u32 v[0:1], s[16:17], s15, v10, v[0:1]
	v_mad_u64_u32 v[7:8], s[16:17], s14, v9, 0
	v_mov_b32_e32 v6, v0
	v_lshlrev_b64 v[0:1], 2, v[3:4]
	v_mov_b32_e32 v2, v8
	v_mad_u64_u32 v[2:3], s[16:17], s15, v9, v[2:3]
	v_mov_b32_e32 v4, s13
	v_add_co_u32_e32 v20, vcc, s12, v0
	v_addc_co_u32_e32 v21, vcc, v4, v1, vcc
	v_or_b32_e32 v1, 16, v10
	v_mad_u64_u32 v[23:24], s[12:13], s14, v1, 0
	v_mov_b32_e32 v8, v2
	v_or_b32_e32 v2, 8, v10
	v_mad_u64_u32 v[25:26], s[12:13], s14, v2, 0
	v_mov_b32_e32 v0, v24
	v_mad_u64_u32 v[0:1], s[12:13], s15, v1, v[0:1]
	v_mov_b32_e32 v1, v26
	v_mad_u64_u32 v[1:2], s[12:13], s15, v2, v[1:2]
	s_load_dword s18, s[4:5], 0x10
	v_mov_b32_e32 v24, v0
	v_mov_b32_e32 v26, v1
	v_lshlrev_b32_e32 v0, 2, v10
	v_lshl_or_b32 v22, v11, 7, v0
	v_lshlrev_b64 v[0:1], 2, v[5:6]
	v_lshlrev_b64 v[2:3], 2, v[7:8]
	;; [unrolled: 1-line block ×4, first 2 shown]
	v_lshlrev_b32_e32 v23, 2, v11
	s_lshl_b64 s[12:13], s[14:15], 7
	s_mov_b64 s[14:15], 0
	v_lshl_or_b32 v24, v10, 7, v23
	s_branch .LBB8_3
.LBB8_2:                                ;   in Loop: Header=BB8_3 Depth=1
	s_or_b64 exec, exec, s[4:5]
	v_add_co_u32_e32 v12, vcc, 0x80, v12
	v_addc_co_u32_e32 v13, vcc, 0, v13, vcc
	v_add_co_u32_e32 v14, vcc, 0x80, v14
	v_addc_co_u32_e32 v15, vcc, 0, v15, vcc
	;; [unrolled: 2-line block ×3, first 2 shown]
	s_add_u32 s14, s14, 32
	v_add_co_u32_e32 v18, vcc, 0x80, v18
	v_mov_b32_e32 v8, s22
	s_addc_u32 s15, s15, 0
	v_addc_co_u32_e32 v19, vcc, 0, v19, vcc
	v_mov_b32_e32 v9, s23
	v_cmp_lt_i64_e32 vcc, s[14:15], v[8:9]
	v_mov_b32_e32 v25, s13
	v_add_co_u32_e64 v20, s[4:5], s12, v20
	v_addc_co_u32_e64 v21, s[4:5], v21, v25, s[4:5]
	s_cbranch_vccz .LBB8_20
.LBB8_3:                                ; =>This Inner Loop Header: Depth=1
	v_mov_b32_e32 v9, s15
	v_add_co_u32_e32 v8, vcc, s14, v10
	v_addc_co_u32_e32 v9, vcc, 0, v9, vcc
	v_cmp_gt_i64_e32 vcc, s[22:23], v[8:9]
	s_waitcnt lgkmcnt(0)
	s_and_b64 s[16:17], s[0:1], vcc
	s_waitcnt vmcnt(0)
	s_barrier
	s_and_saveexec_b64 s[4:5], s[16:17]
	s_cbranch_execz .LBB8_5
; %bb.4:                                ;   in Loop: Header=BB8_3 Depth=1
	v_add_co_u32_e32 v25, vcc, v20, v0
	v_addc_co_u32_e32 v26, vcc, v21, v1, vcc
	global_load_dword v25, v[25:26], off
	s_waitcnt vmcnt(0)
	ds_write_b32 v24, v25
.LBB8_5:                                ;   in Loop: Header=BB8_3 Depth=1
	s_or_b64 exec, exec, s[4:5]
	s_and_saveexec_b64 s[4:5], s[0:1]
	s_cbranch_execz .LBB8_12
; %bb.6:                                ;   in Loop: Header=BB8_3 Depth=1
	v_add_co_u32_e32 v25, vcc, 8, v8
	v_addc_co_u32_e32 v26, vcc, 0, v9, vcc
	v_cmp_gt_i64_e32 vcc, s[22:23], v[25:26]
	s_and_saveexec_b64 s[16:17], vcc
	s_cbranch_execz .LBB8_8
; %bb.7:                                ;   in Loop: Header=BB8_3 Depth=1
	v_add_co_u32_e32 v25, vcc, v20, v6
	v_addc_co_u32_e32 v26, vcc, v21, v7, vcc
	global_load_dword v25, v[25:26], off
	s_waitcnt vmcnt(0)
	ds_write_b32 v24, v25 offset:1024
.LBB8_8:                                ;   in Loop: Header=BB8_3 Depth=1
	s_or_b64 exec, exec, s[16:17]
	v_add_co_u32_e32 v25, vcc, 16, v8
	v_addc_co_u32_e32 v26, vcc, 0, v9, vcc
	v_cmp_gt_i64_e32 vcc, s[22:23], v[25:26]
	s_and_saveexec_b64 s[16:17], vcc
	s_cbranch_execz .LBB8_10
; %bb.9:                                ;   in Loop: Header=BB8_3 Depth=1
	v_add_co_u32_e32 v25, vcc, v20, v4
	v_addc_co_u32_e32 v26, vcc, v21, v5, vcc
	global_load_dword v25, v[25:26], off
	s_waitcnt vmcnt(0)
	ds_write_b32 v24, v25 offset:2048
.LBB8_10:                               ;   in Loop: Header=BB8_3 Depth=1
	s_or_b64 exec, exec, s[16:17]
	v_add_co_u32_e32 v8, vcc, 24, v8
	v_addc_co_u32_e32 v9, vcc, 0, v9, vcc
	v_cmp_gt_i64_e32 vcc, s[22:23], v[8:9]
	s_and_b64 exec, exec, vcc
	s_cbranch_execz .LBB8_12
; %bb.11:                               ;   in Loop: Header=BB8_3 Depth=1
	v_add_co_u32_e32 v8, vcc, v20, v2
	v_addc_co_u32_e32 v9, vcc, v21, v3, vcc
	global_load_dword v8, v[8:9], off
	s_waitcnt vmcnt(0)
	ds_write_b32 v24, v8 offset:3072
.LBB8_12:                               ;   in Loop: Header=BB8_3 Depth=1
	s_or_b64 exec, exec, s[4:5]
	v_mov_b32_e32 v9, s15
	v_add_co_u32_e32 v8, vcc, s14, v11
	v_addc_co_u32_e32 v9, vcc, 0, v9, vcc
	v_cmp_le_i64_e32 vcc, s[22:23], v[8:9]
	s_waitcnt lgkmcnt(0)
	s_nor_b64 s[4:5], vcc, s[2:3]
	s_barrier
	s_and_saveexec_b64 s[16:17], s[4:5]
	s_cbranch_execnz .LBB8_16
; %bb.13:                               ;   in Loop: Header=BB8_3 Depth=1
	s_or_b64 exec, exec, s[16:17]
	s_nor_b64 s[4:5], vcc, s[10:11]
	s_and_saveexec_b64 s[16:17], s[4:5]
	s_cbranch_execnz .LBB8_17
.LBB8_14:                               ;   in Loop: Header=BB8_3 Depth=1
	s_or_b64 exec, exec, s[16:17]
	s_nor_b64 s[4:5], vcc, s[6:7]
	s_and_saveexec_b64 s[16:17], s[4:5]
	s_cbranch_execnz .LBB8_18
.LBB8_15:                               ;   in Loop: Header=BB8_3 Depth=1
	s_or_b64 exec, exec, s[16:17]
	s_nor_b64 s[16:17], vcc, s[8:9]
	s_and_saveexec_b64 s[4:5], s[16:17]
	s_cbranch_execz .LBB8_2
	s_branch .LBB8_19
.LBB8_16:                               ;   in Loop: Header=BB8_3 Depth=1
	ds_read_b32 v25, v22
	v_add_co_u32_e64 v8, s[4:5], v12, v23
	v_addc_co_u32_e64 v9, s[4:5], 0, v13, s[4:5]
	s_waitcnt lgkmcnt(0)
	v_mul_f32_e32 v25, s18, v25
	global_store_dword v[8:9], v25, off
	s_or_b64 exec, exec, s[16:17]
	s_nor_b64 s[4:5], vcc, s[10:11]
	s_and_saveexec_b64 s[16:17], s[4:5]
	s_cbranch_execz .LBB8_14
.LBB8_17:                               ;   in Loop: Header=BB8_3 Depth=1
	ds_read_b32 v25, v22 offset:32
	v_add_co_u32_e64 v8, s[4:5], v14, v23
	v_addc_co_u32_e64 v9, s[4:5], 0, v15, s[4:5]
	s_waitcnt lgkmcnt(0)
	v_mul_f32_e32 v25, s18, v25
	global_store_dword v[8:9], v25, off
	s_or_b64 exec, exec, s[16:17]
	s_nor_b64 s[4:5], vcc, s[6:7]
	s_and_saveexec_b64 s[16:17], s[4:5]
	s_cbranch_execz .LBB8_15
.LBB8_18:                               ;   in Loop: Header=BB8_3 Depth=1
	ds_read_b32 v25, v22 offset:64
	v_add_co_u32_e64 v8, s[4:5], v16, v23
	v_addc_co_u32_e64 v9, s[4:5], 0, v17, s[4:5]
	s_waitcnt lgkmcnt(0)
	v_mul_f32_e32 v25, s18, v25
	global_store_dword v[8:9], v25, off
	s_or_b64 exec, exec, s[16:17]
	s_nor_b64 s[16:17], vcc, s[8:9]
	s_and_saveexec_b64 s[4:5], s[16:17]
	s_cbranch_execz .LBB8_2
.LBB8_19:                               ;   in Loop: Header=BB8_3 Depth=1
	ds_read_b32 v25, v22 offset:96
	v_add_co_u32_e32 v8, vcc, v18, v23
	v_addc_co_u32_e32 v9, vcc, 0, v19, vcc
	s_waitcnt lgkmcnt(0)
	v_mul_f32_e32 v25, s18, v25
	global_store_dword v[8:9], v25, off
	s_branch .LBB8_2
.LBB8_20:
	s_endpgm
	.section	.rodata,"a",@progbits
	.p2align	6, 0x0
	.amdhsa_kernel _ZN9rocsparseL22dense_transpose_kernelILj32ELj8ElffEEvT1_S1_T3_PKT2_lPS3_l
		.amdhsa_group_segment_fixed_size 4096
		.amdhsa_private_segment_fixed_size 0
		.amdhsa_kernarg_size 56
		.amdhsa_user_sgpr_count 6
		.amdhsa_user_sgpr_private_segment_buffer 1
		.amdhsa_user_sgpr_dispatch_ptr 0
		.amdhsa_user_sgpr_queue_ptr 0
		.amdhsa_user_sgpr_kernarg_segment_ptr 1
		.amdhsa_user_sgpr_dispatch_id 0
		.amdhsa_user_sgpr_flat_scratch_init 0
		.amdhsa_user_sgpr_private_segment_size 0
		.amdhsa_uses_dynamic_stack 0
		.amdhsa_system_sgpr_private_segment_wavefront_offset 0
		.amdhsa_system_sgpr_workgroup_id_x 1
		.amdhsa_system_sgpr_workgroup_id_y 0
		.amdhsa_system_sgpr_workgroup_id_z 0
		.amdhsa_system_sgpr_workgroup_info 0
		.amdhsa_system_vgpr_workitem_id 0
		.amdhsa_next_free_vgpr 27
		.amdhsa_next_free_sgpr 24
		.amdhsa_reserve_vcc 1
		.amdhsa_reserve_flat_scratch 0
		.amdhsa_float_round_mode_32 0
		.amdhsa_float_round_mode_16_64 0
		.amdhsa_float_denorm_mode_32 3
		.amdhsa_float_denorm_mode_16_64 3
		.amdhsa_dx10_clamp 1
		.amdhsa_ieee_mode 1
		.amdhsa_fp16_overflow 0
		.amdhsa_exception_fp_ieee_invalid_op 0
		.amdhsa_exception_fp_denorm_src 0
		.amdhsa_exception_fp_ieee_div_zero 0
		.amdhsa_exception_fp_ieee_overflow 0
		.amdhsa_exception_fp_ieee_underflow 0
		.amdhsa_exception_fp_ieee_inexact 0
		.amdhsa_exception_int_div_zero 0
	.end_amdhsa_kernel
	.section	.text._ZN9rocsparseL22dense_transpose_kernelILj32ELj8ElffEEvT1_S1_T3_PKT2_lPS3_l,"axG",@progbits,_ZN9rocsparseL22dense_transpose_kernelILj32ELj8ElffEEvT1_S1_T3_PKT2_lPS3_l,comdat
.Lfunc_end8:
	.size	_ZN9rocsparseL22dense_transpose_kernelILj32ELj8ElffEEvT1_S1_T3_PKT2_lPS3_l, .Lfunc_end8-_ZN9rocsparseL22dense_transpose_kernelILj32ELj8ElffEEvT1_S1_T3_PKT2_lPS3_l
                                        ; -- End function
	.set _ZN9rocsparseL22dense_transpose_kernelILj32ELj8ElffEEvT1_S1_T3_PKT2_lPS3_l.num_vgpr, 27
	.set _ZN9rocsparseL22dense_transpose_kernelILj32ELj8ElffEEvT1_S1_T3_PKT2_lPS3_l.num_agpr, 0
	.set _ZN9rocsparseL22dense_transpose_kernelILj32ELj8ElffEEvT1_S1_T3_PKT2_lPS3_l.numbered_sgpr, 24
	.set _ZN9rocsparseL22dense_transpose_kernelILj32ELj8ElffEEvT1_S1_T3_PKT2_lPS3_l.num_named_barrier, 0
	.set _ZN9rocsparseL22dense_transpose_kernelILj32ELj8ElffEEvT1_S1_T3_PKT2_lPS3_l.private_seg_size, 0
	.set _ZN9rocsparseL22dense_transpose_kernelILj32ELj8ElffEEvT1_S1_T3_PKT2_lPS3_l.uses_vcc, 1
	.set _ZN9rocsparseL22dense_transpose_kernelILj32ELj8ElffEEvT1_S1_T3_PKT2_lPS3_l.uses_flat_scratch, 0
	.set _ZN9rocsparseL22dense_transpose_kernelILj32ELj8ElffEEvT1_S1_T3_PKT2_lPS3_l.has_dyn_sized_stack, 0
	.set _ZN9rocsparseL22dense_transpose_kernelILj32ELj8ElffEEvT1_S1_T3_PKT2_lPS3_l.has_recursion, 0
	.set _ZN9rocsparseL22dense_transpose_kernelILj32ELj8ElffEEvT1_S1_T3_PKT2_lPS3_l.has_indirect_call, 0
	.section	.AMDGPU.csdata,"",@progbits
; Kernel info:
; codeLenInByte = 1128
; TotalNumSgprs: 28
; NumVgprs: 27
; ScratchSize: 0
; MemoryBound: 0
; FloatMode: 240
; IeeeMode: 1
; LDSByteSize: 4096 bytes/workgroup (compile time only)
; SGPRBlocks: 3
; VGPRBlocks: 6
; NumSGPRsForWavesPerEU: 28
; NumVGPRsForWavesPerEU: 27
; Occupancy: 9
; WaveLimiterHint : 0
; COMPUTE_PGM_RSRC2:SCRATCH_EN: 0
; COMPUTE_PGM_RSRC2:USER_SGPR: 6
; COMPUTE_PGM_RSRC2:TRAP_HANDLER: 0
; COMPUTE_PGM_RSRC2:TGID_X_EN: 1
; COMPUTE_PGM_RSRC2:TGID_Y_EN: 0
; COMPUTE_PGM_RSRC2:TGID_Z_EN: 0
; COMPUTE_PGM_RSRC2:TIDIG_COMP_CNT: 0
	.section	.text._ZN9rocsparseL22dense_transpose_kernelILj32ELj8ElfPKfEEvT1_S3_T3_PKT2_lPS5_l,"axG",@progbits,_ZN9rocsparseL22dense_transpose_kernelILj32ELj8ElfPKfEEvT1_S3_T3_PKT2_lPS5_l,comdat
	.globl	_ZN9rocsparseL22dense_transpose_kernelILj32ELj8ElfPKfEEvT1_S3_T3_PKT2_lPS5_l ; -- Begin function _ZN9rocsparseL22dense_transpose_kernelILj32ELj8ElfPKfEEvT1_S3_T3_PKT2_lPS5_l
	.p2align	8
	.type	_ZN9rocsparseL22dense_transpose_kernelILj32ELj8ElfPKfEEvT1_S3_T3_PKT2_lPS5_l,@function
_ZN9rocsparseL22dense_transpose_kernelILj32ELj8ElfPKfEEvT1_S3_T3_PKT2_lPS5_l: ; @_ZN9rocsparseL22dense_transpose_kernelILj32ELj8ElfPKfEEvT1_S3_T3_PKT2_lPS5_l
; %bb.0:
	s_load_dwordx8 s[12:19], s[4:5], 0x0
	s_waitcnt lgkmcnt(0)
	v_cmp_lt_i64_e64 s[0:1], s[14:15], 1
	s_and_b64 vcc, exec, s[0:1]
	s_cbranch_vccnz .LBB9_20
; %bb.1:
	s_load_dwordx8 s[20:27], s[4:5], 0x20
	s_lshl_b32 s0, s6, 5
	v_lshrrev_b32_e32 v10, 5, v0
	v_or_b32_e32 v1, s0, v10
	v_mov_b32_e32 v2, 0
	s_waitcnt lgkmcnt(0)
	v_mad_u64_u32 v[8:9], s[6:7], s24, v1, 0
	v_and_b32_e32 v11, 31, v0
	v_or_b32_e32 v5, 8, v1
	v_mov_b32_e32 v6, v2
	v_mov_b32_e32 v0, v9
	v_cmp_le_i64_e64 s[2:3], s[12:13], v[1:2]
	v_cmp_le_i64_e64 s[4:5], s[12:13], v[5:6]
	v_or_b32_e32 v6, 16, v1
	v_or_b32_e32 v16, 24, v1
	v_mad_u64_u32 v[0:1], s[8:9], s25, v1, v[0:1]
	v_mov_b32_e32 v4, v2
	v_mov_b32_e32 v7, v2
	;; [unrolled: 1-line block ×3, first 2 shown]
	v_mad_u64_u32 v[1:2], s[10:11], s24, v5, 0
	v_mov_b32_e32 v9, v0
	v_cmp_le_i64_e64 s[6:7], s[12:13], v[6:7]
	v_lshlrev_b64 v[7:8], 2, v[8:9]
	v_mov_b32_e32 v0, v2
	v_mov_b32_e32 v9, s23
	v_mad_u64_u32 v[14:15], s[10:11], s25, v5, v[0:1]
	v_add_co_u32_e32 v12, vcc, s22, v7
	v_addc_co_u32_e32 v13, vcc, v9, v8, vcc
	v_mad_u64_u32 v[7:8], s[10:11], s24, v6, 0
	v_mov_b32_e32 v2, v14
	v_or_b32_e32 v3, s0, v11
	v_lshlrev_b64 v[0:1], 2, v[1:2]
	v_mov_b32_e32 v2, v8
	v_mad_u64_u32 v[5:6], s[10:11], s25, v6, v[2:3]
	v_add_co_u32_e32 v14, vcc, s22, v0
	v_addc_co_u32_e32 v15, vcc, v9, v1, vcc
	v_mad_u64_u32 v[0:1], s[10:11], s24, v16, 0
	v_mov_b32_e32 v8, v5
	v_lshlrev_b64 v[5:6], 2, v[7:8]
	v_mad_u64_u32 v[1:2], s[10:11], s25, v16, v[1:2]
	v_cmp_le_i64_e64 s[8:9], s[12:13], v[16:17]
	v_mov_b32_e32 v7, s23
	v_add_co_u32_e32 v16, vcc, s22, v5
	v_addc_co_u32_e32 v17, vcc, v7, v6, vcc
	v_mad_u64_u32 v[5:6], s[10:11], s20, v10, 0
	v_lshlrev_b64 v[0:1], 2, v[0:1]
	v_mov_b32_e32 v2, s23
	v_add_co_u32_e32 v18, vcc, s22, v0
	v_mov_b32_e32 v0, v6
	v_or_b32_e32 v9, 24, v10
	v_addc_co_u32_e32 v19, vcc, v2, v1, vcc
	v_mad_u64_u32 v[0:1], s[10:11], s21, v10, v[0:1]
	v_mad_u64_u32 v[7:8], s[10:11], s20, v9, 0
	v_mov_b32_e32 v6, v0
	v_lshlrev_b64 v[0:1], 2, v[3:4]
	v_mov_b32_e32 v2, v8
	v_cmp_gt_i64_e64 s[0:1], s[12:13], v[3:4]
	v_mad_u64_u32 v[2:3], s[10:11], s21, v9, v[2:3]
	v_mov_b32_e32 v4, s19
	v_add_co_u32_e32 v20, vcc, s18, v0
	v_addc_co_u32_e32 v21, vcc, v4, v1, vcc
	v_or_b32_e32 v1, 16, v10
	v_mad_u64_u32 v[23:24], s[10:11], s20, v1, 0
	v_mov_b32_e32 v8, v2
	v_or_b32_e32 v2, 8, v10
	v_mad_u64_u32 v[25:26], s[10:11], s20, v2, 0
	v_mov_b32_e32 v0, v24
	v_mad_u64_u32 v[0:1], s[10:11], s21, v1, v[0:1]
	v_mov_b32_e32 v1, v26
	v_mad_u64_u32 v[1:2], s[10:11], s21, v2, v[1:2]
	s_load_dword s22, s[16:17], 0x0
	v_mov_b32_e32 v24, v0
	v_mov_b32_e32 v26, v1
	v_lshlrev_b32_e32 v0, 2, v10
	v_lshl_or_b32 v22, v11, 7, v0
	v_lshlrev_b64 v[0:1], 2, v[5:6]
	v_lshlrev_b64 v[2:3], 2, v[7:8]
	;; [unrolled: 1-line block ×4, first 2 shown]
	v_lshlrev_b32_e32 v23, 2, v11
	s_lshl_b64 s[12:13], s[20:21], 7
	s_mov_b64 s[16:17], 0
	v_lshl_or_b32 v24, v10, 7, v23
	s_branch .LBB9_3
.LBB9_2:                                ;   in Loop: Header=BB9_3 Depth=1
	s_or_b64 exec, exec, s[10:11]
	v_add_co_u32_e32 v12, vcc, 0x80, v12
	v_addc_co_u32_e32 v13, vcc, 0, v13, vcc
	v_add_co_u32_e32 v14, vcc, 0x80, v14
	v_addc_co_u32_e32 v15, vcc, 0, v15, vcc
	;; [unrolled: 2-line block ×3, first 2 shown]
	s_add_u32 s16, s16, 32
	v_add_co_u32_e32 v18, vcc, 0x80, v18
	v_mov_b32_e32 v8, s14
	s_addc_u32 s17, s17, 0
	v_addc_co_u32_e32 v19, vcc, 0, v19, vcc
	v_mov_b32_e32 v9, s15
	v_cmp_lt_i64_e32 vcc, s[16:17], v[8:9]
	v_mov_b32_e32 v25, s13
	v_add_co_u32_e64 v20, s[10:11], s12, v20
	v_addc_co_u32_e64 v21, s[10:11], v21, v25, s[10:11]
	s_cbranch_vccz .LBB9_20
.LBB9_3:                                ; =>This Inner Loop Header: Depth=1
	v_mov_b32_e32 v9, s17
	v_add_co_u32_e32 v8, vcc, s16, v10
	v_addc_co_u32_e32 v9, vcc, 0, v9, vcc
	v_cmp_gt_i64_e32 vcc, s[14:15], v[8:9]
	s_waitcnt lgkmcnt(0)
	s_and_b64 s[18:19], s[0:1], vcc
	s_waitcnt vmcnt(0)
	s_barrier
	s_and_saveexec_b64 s[10:11], s[18:19]
	s_cbranch_execz .LBB9_5
; %bb.4:                                ;   in Loop: Header=BB9_3 Depth=1
	v_add_co_u32_e32 v25, vcc, v20, v0
	v_addc_co_u32_e32 v26, vcc, v21, v1, vcc
	global_load_dword v25, v[25:26], off
	s_waitcnt vmcnt(0)
	ds_write_b32 v24, v25
.LBB9_5:                                ;   in Loop: Header=BB9_3 Depth=1
	s_or_b64 exec, exec, s[10:11]
	s_and_saveexec_b64 s[10:11], s[0:1]
	s_cbranch_execz .LBB9_12
; %bb.6:                                ;   in Loop: Header=BB9_3 Depth=1
	v_add_co_u32_e32 v25, vcc, 8, v8
	v_addc_co_u32_e32 v26, vcc, 0, v9, vcc
	v_cmp_gt_i64_e32 vcc, s[14:15], v[25:26]
	s_and_saveexec_b64 s[18:19], vcc
	s_cbranch_execz .LBB9_8
; %bb.7:                                ;   in Loop: Header=BB9_3 Depth=1
	v_add_co_u32_e32 v25, vcc, v20, v6
	v_addc_co_u32_e32 v26, vcc, v21, v7, vcc
	global_load_dword v25, v[25:26], off
	s_waitcnt vmcnt(0)
	ds_write_b32 v24, v25 offset:1024
.LBB9_8:                                ;   in Loop: Header=BB9_3 Depth=1
	s_or_b64 exec, exec, s[18:19]
	v_add_co_u32_e32 v25, vcc, 16, v8
	v_addc_co_u32_e32 v26, vcc, 0, v9, vcc
	v_cmp_gt_i64_e32 vcc, s[14:15], v[25:26]
	s_and_saveexec_b64 s[18:19], vcc
	s_cbranch_execz .LBB9_10
; %bb.9:                                ;   in Loop: Header=BB9_3 Depth=1
	v_add_co_u32_e32 v25, vcc, v20, v4
	v_addc_co_u32_e32 v26, vcc, v21, v5, vcc
	global_load_dword v25, v[25:26], off
	s_waitcnt vmcnt(0)
	ds_write_b32 v24, v25 offset:2048
.LBB9_10:                               ;   in Loop: Header=BB9_3 Depth=1
	s_or_b64 exec, exec, s[18:19]
	v_add_co_u32_e32 v8, vcc, 24, v8
	v_addc_co_u32_e32 v9, vcc, 0, v9, vcc
	v_cmp_gt_i64_e32 vcc, s[14:15], v[8:9]
	s_and_b64 exec, exec, vcc
	s_cbranch_execz .LBB9_12
; %bb.11:                               ;   in Loop: Header=BB9_3 Depth=1
	v_add_co_u32_e32 v8, vcc, v20, v2
	v_addc_co_u32_e32 v9, vcc, v21, v3, vcc
	global_load_dword v8, v[8:9], off
	s_waitcnt vmcnt(0)
	ds_write_b32 v24, v8 offset:3072
.LBB9_12:                               ;   in Loop: Header=BB9_3 Depth=1
	s_or_b64 exec, exec, s[10:11]
	v_mov_b32_e32 v9, s17
	v_add_co_u32_e32 v8, vcc, s16, v11
	v_addc_co_u32_e32 v9, vcc, 0, v9, vcc
	v_cmp_le_i64_e32 vcc, s[14:15], v[8:9]
	s_waitcnt lgkmcnt(0)
	s_nor_b64 s[10:11], vcc, s[2:3]
	s_barrier
	s_and_saveexec_b64 s[18:19], s[10:11]
	s_cbranch_execnz .LBB9_16
; %bb.13:                               ;   in Loop: Header=BB9_3 Depth=1
	s_or_b64 exec, exec, s[18:19]
	s_nor_b64 s[10:11], vcc, s[4:5]
	s_and_saveexec_b64 s[18:19], s[10:11]
	s_cbranch_execnz .LBB9_17
.LBB9_14:                               ;   in Loop: Header=BB9_3 Depth=1
	s_or_b64 exec, exec, s[18:19]
	s_nor_b64 s[10:11], vcc, s[6:7]
	s_and_saveexec_b64 s[18:19], s[10:11]
	s_cbranch_execnz .LBB9_18
.LBB9_15:                               ;   in Loop: Header=BB9_3 Depth=1
	s_or_b64 exec, exec, s[18:19]
	s_nor_b64 s[18:19], vcc, s[8:9]
	s_and_saveexec_b64 s[10:11], s[18:19]
	s_cbranch_execz .LBB9_2
	s_branch .LBB9_19
.LBB9_16:                               ;   in Loop: Header=BB9_3 Depth=1
	ds_read_b32 v25, v22
	v_add_co_u32_e64 v8, s[10:11], v12, v23
	v_addc_co_u32_e64 v9, s[10:11], 0, v13, s[10:11]
	s_waitcnt lgkmcnt(0)
	v_mul_f32_e32 v25, s22, v25
	global_store_dword v[8:9], v25, off
	s_or_b64 exec, exec, s[18:19]
	s_nor_b64 s[10:11], vcc, s[4:5]
	s_and_saveexec_b64 s[18:19], s[10:11]
	s_cbranch_execz .LBB9_14
.LBB9_17:                               ;   in Loop: Header=BB9_3 Depth=1
	ds_read_b32 v25, v22 offset:32
	v_add_co_u32_e64 v8, s[10:11], v14, v23
	v_addc_co_u32_e64 v9, s[10:11], 0, v15, s[10:11]
	s_waitcnt lgkmcnt(0)
	v_mul_f32_e32 v25, s22, v25
	global_store_dword v[8:9], v25, off
	s_or_b64 exec, exec, s[18:19]
	s_nor_b64 s[10:11], vcc, s[6:7]
	s_and_saveexec_b64 s[18:19], s[10:11]
	s_cbranch_execz .LBB9_15
.LBB9_18:                               ;   in Loop: Header=BB9_3 Depth=1
	ds_read_b32 v25, v22 offset:64
	v_add_co_u32_e64 v8, s[10:11], v16, v23
	v_addc_co_u32_e64 v9, s[10:11], 0, v17, s[10:11]
	s_waitcnt lgkmcnt(0)
	v_mul_f32_e32 v25, s22, v25
	global_store_dword v[8:9], v25, off
	s_or_b64 exec, exec, s[18:19]
	s_nor_b64 s[18:19], vcc, s[8:9]
	s_and_saveexec_b64 s[10:11], s[18:19]
	s_cbranch_execz .LBB9_2
.LBB9_19:                               ;   in Loop: Header=BB9_3 Depth=1
	ds_read_b32 v25, v22 offset:96
	v_add_co_u32_e32 v8, vcc, v18, v23
	v_addc_co_u32_e32 v9, vcc, 0, v19, vcc
	s_waitcnt lgkmcnt(0)
	v_mul_f32_e32 v25, s22, v25
	global_store_dword v[8:9], v25, off
	s_branch .LBB9_2
.LBB9_20:
	s_endpgm
	.section	.rodata,"a",@progbits
	.p2align	6, 0x0
	.amdhsa_kernel _ZN9rocsparseL22dense_transpose_kernelILj32ELj8ElfPKfEEvT1_S3_T3_PKT2_lPS5_l
		.amdhsa_group_segment_fixed_size 4096
		.amdhsa_private_segment_fixed_size 0
		.amdhsa_kernarg_size 56
		.amdhsa_user_sgpr_count 6
		.amdhsa_user_sgpr_private_segment_buffer 1
		.amdhsa_user_sgpr_dispatch_ptr 0
		.amdhsa_user_sgpr_queue_ptr 0
		.amdhsa_user_sgpr_kernarg_segment_ptr 1
		.amdhsa_user_sgpr_dispatch_id 0
		.amdhsa_user_sgpr_flat_scratch_init 0
		.amdhsa_user_sgpr_private_segment_size 0
		.amdhsa_uses_dynamic_stack 0
		.amdhsa_system_sgpr_private_segment_wavefront_offset 0
		.amdhsa_system_sgpr_workgroup_id_x 1
		.amdhsa_system_sgpr_workgroup_id_y 0
		.amdhsa_system_sgpr_workgroup_id_z 0
		.amdhsa_system_sgpr_workgroup_info 0
		.amdhsa_system_vgpr_workitem_id 0
		.amdhsa_next_free_vgpr 27
		.amdhsa_next_free_sgpr 28
		.amdhsa_reserve_vcc 1
		.amdhsa_reserve_flat_scratch 0
		.amdhsa_float_round_mode_32 0
		.amdhsa_float_round_mode_16_64 0
		.amdhsa_float_denorm_mode_32 3
		.amdhsa_float_denorm_mode_16_64 3
		.amdhsa_dx10_clamp 1
		.amdhsa_ieee_mode 1
		.amdhsa_fp16_overflow 0
		.amdhsa_exception_fp_ieee_invalid_op 0
		.amdhsa_exception_fp_denorm_src 0
		.amdhsa_exception_fp_ieee_div_zero 0
		.amdhsa_exception_fp_ieee_overflow 0
		.amdhsa_exception_fp_ieee_underflow 0
		.amdhsa_exception_fp_ieee_inexact 0
		.amdhsa_exception_int_div_zero 0
	.end_amdhsa_kernel
	.section	.text._ZN9rocsparseL22dense_transpose_kernelILj32ELj8ElfPKfEEvT1_S3_T3_PKT2_lPS5_l,"axG",@progbits,_ZN9rocsparseL22dense_transpose_kernelILj32ELj8ElfPKfEEvT1_S3_T3_PKT2_lPS5_l,comdat
.Lfunc_end9:
	.size	_ZN9rocsparseL22dense_transpose_kernelILj32ELj8ElfPKfEEvT1_S3_T3_PKT2_lPS5_l, .Lfunc_end9-_ZN9rocsparseL22dense_transpose_kernelILj32ELj8ElfPKfEEvT1_S3_T3_PKT2_lPS5_l
                                        ; -- End function
	.set _ZN9rocsparseL22dense_transpose_kernelILj32ELj8ElfPKfEEvT1_S3_T3_PKT2_lPS5_l.num_vgpr, 27
	.set _ZN9rocsparseL22dense_transpose_kernelILj32ELj8ElfPKfEEvT1_S3_T3_PKT2_lPS5_l.num_agpr, 0
	.set _ZN9rocsparseL22dense_transpose_kernelILj32ELj8ElfPKfEEvT1_S3_T3_PKT2_lPS5_l.numbered_sgpr, 28
	.set _ZN9rocsparseL22dense_transpose_kernelILj32ELj8ElfPKfEEvT1_S3_T3_PKT2_lPS5_l.num_named_barrier, 0
	.set _ZN9rocsparseL22dense_transpose_kernelILj32ELj8ElfPKfEEvT1_S3_T3_PKT2_lPS5_l.private_seg_size, 0
	.set _ZN9rocsparseL22dense_transpose_kernelILj32ELj8ElfPKfEEvT1_S3_T3_PKT2_lPS5_l.uses_vcc, 1
	.set _ZN9rocsparseL22dense_transpose_kernelILj32ELj8ElfPKfEEvT1_S3_T3_PKT2_lPS5_l.uses_flat_scratch, 0
	.set _ZN9rocsparseL22dense_transpose_kernelILj32ELj8ElfPKfEEvT1_S3_T3_PKT2_lPS5_l.has_dyn_sized_stack, 0
	.set _ZN9rocsparseL22dense_transpose_kernelILj32ELj8ElfPKfEEvT1_S3_T3_PKT2_lPS5_l.has_recursion, 0
	.set _ZN9rocsparseL22dense_transpose_kernelILj32ELj8ElfPKfEEvT1_S3_T3_PKT2_lPS5_l.has_indirect_call, 0
	.section	.AMDGPU.csdata,"",@progbits
; Kernel info:
; codeLenInByte = 1128
; TotalNumSgprs: 32
; NumVgprs: 27
; ScratchSize: 0
; MemoryBound: 0
; FloatMode: 240
; IeeeMode: 1
; LDSByteSize: 4096 bytes/workgroup (compile time only)
; SGPRBlocks: 3
; VGPRBlocks: 6
; NumSGPRsForWavesPerEU: 32
; NumVGPRsForWavesPerEU: 27
; Occupancy: 9
; WaveLimiterHint : 0
; COMPUTE_PGM_RSRC2:SCRATCH_EN: 0
; COMPUTE_PGM_RSRC2:USER_SGPR: 6
; COMPUTE_PGM_RSRC2:TRAP_HANDLER: 0
; COMPUTE_PGM_RSRC2:TGID_X_EN: 1
; COMPUTE_PGM_RSRC2:TGID_Y_EN: 0
; COMPUTE_PGM_RSRC2:TGID_Z_EN: 0
; COMPUTE_PGM_RSRC2:TIDIG_COMP_CNT: 0
	.section	.text._ZN9rocsparseL22dense_transpose_kernelILj32ELj8ElddEEvT1_S1_T3_PKT2_lPS3_l,"axG",@progbits,_ZN9rocsparseL22dense_transpose_kernelILj32ELj8ElddEEvT1_S1_T3_PKT2_lPS3_l,comdat
	.globl	_ZN9rocsparseL22dense_transpose_kernelILj32ELj8ElddEEvT1_S1_T3_PKT2_lPS3_l ; -- Begin function _ZN9rocsparseL22dense_transpose_kernelILj32ELj8ElddEEvT1_S1_T3_PKT2_lPS3_l
	.p2align	8
	.type	_ZN9rocsparseL22dense_transpose_kernelILj32ELj8ElddEEvT1_S1_T3_PKT2_lPS3_l,@function
_ZN9rocsparseL22dense_transpose_kernelILj32ELj8ElddEEvT1_S1_T3_PKT2_lPS3_l: ; @_ZN9rocsparseL22dense_transpose_kernelILj32ELj8ElddEEvT1_S1_T3_PKT2_lPS3_l
; %bb.0:
	s_load_dwordx8 s[12:19], s[4:5], 0x0
	s_waitcnt lgkmcnt(0)
	v_cmp_lt_i64_e64 s[0:1], s[14:15], 1
	s_and_b64 vcc, exec, s[0:1]
	s_cbranch_vccnz .LBB10_20
; %bb.1:
	s_load_dwordx8 s[20:27], s[4:5], 0x20
	s_lshl_b32 s0, s6, 5
	v_lshrrev_b32_e32 v12, 5, v0
	v_or_b32_e32 v1, s0, v12
	v_mov_b32_e32 v2, 0
	s_waitcnt lgkmcnt(0)
	v_mad_u64_u32 v[8:9], s[6:7], s24, v1, 0
	v_and_b32_e32 v13, 31, v0
	v_lshlrev_b32_e32 v0, 3, v12
	v_lshl_or_b32 v16, v13, 8, v0
	v_or_b32_e32 v5, 8, v1
	v_mov_b32_e32 v6, v2
	v_mov_b32_e32 v0, v9
	v_cmp_le_i64_e64 s[2:3], s[12:13], v[1:2]
	v_cmp_le_i64_e64 s[4:5], s[12:13], v[5:6]
	v_or_b32_e32 v6, 16, v1
	v_or_b32_e32 v10, 24, v1
	v_mad_u64_u32 v[0:1], s[8:9], s25, v1, v[0:1]
	v_mov_b32_e32 v4, v2
	v_mov_b32_e32 v7, v2
	;; [unrolled: 1-line block ×3, first 2 shown]
	v_mad_u64_u32 v[1:2], s[10:11], s24, v5, 0
	v_mov_b32_e32 v9, v0
	v_cmp_le_i64_e64 s[6:7], s[12:13], v[6:7]
	v_lshlrev_b64 v[7:8], 3, v[8:9]
	v_mov_b32_e32 v0, v2
	v_mov_b32_e32 v9, s23
	v_mad_u64_u32 v[19:20], s[10:11], s25, v5, v[0:1]
	v_add_co_u32_e32 v17, vcc, s22, v7
	v_addc_co_u32_e32 v18, vcc, v9, v8, vcc
	v_mad_u64_u32 v[7:8], s[10:11], s24, v6, 0
	v_mov_b32_e32 v2, v19
	v_or_b32_e32 v3, s0, v13
	v_lshlrev_b64 v[0:1], 3, v[1:2]
	v_mov_b32_e32 v2, v8
	v_mad_u64_u32 v[5:6], s[10:11], s25, v6, v[2:3]
	v_add_co_u32_e32 v19, vcc, s22, v0
	v_addc_co_u32_e32 v20, vcc, v9, v1, vcc
	v_mad_u64_u32 v[0:1], s[10:11], s24, v10, 0
	v_mov_b32_e32 v8, v5
	v_lshlrev_b64 v[5:6], 3, v[7:8]
	v_mov_b32_e32 v7, s23
	v_mad_u64_u32 v[1:2], s[10:11], s25, v10, v[1:2]
	v_add_co_u32_e32 v21, vcc, s22, v5
	v_addc_co_u32_e32 v22, vcc, v7, v6, vcc
	v_mad_u64_u32 v[5:6], s[10:11], s20, v12, 0
	v_lshlrev_b64 v[0:1], 3, v[0:1]
	v_mov_b32_e32 v8, s23
	v_mov_b32_e32 v2, v6
	v_mad_u64_u32 v[6:7], s[10:11], s21, v12, v[2:3]
	v_add_co_u32_e32 v23, vcc, s22, v0
	v_or_b32_e32 v9, 24, v12
	v_addc_co_u32_e32 v24, vcc, v8, v1, vcc
	v_mad_u64_u32 v[7:8], s[10:11], s20, v9, 0
	v_cmp_gt_i64_e64 s[0:1], s[12:13], v[3:4]
	v_lshlrev_b64 v[2:3], 3, v[3:4]
	v_mov_b32_e32 v4, v8
	v_lshlrev_b64 v[0:1], 3, v[5:6]
	v_mad_u64_u32 v[4:5], s[10:11], s21, v9, v[4:5]
	v_mov_b32_e32 v6, s19
	v_add_co_u32_e32 v25, vcc, s18, v2
	v_addc_co_u32_e32 v26, vcc, v6, v3, vcc
	v_or_b32_e32 v3, 16, v12
	v_cmp_le_i64_e64 s[8:9], s[12:13], v[10:11]
	v_mov_b32_e32 v8, v4
	v_mad_u64_u32 v[4:5], s[10:11], s20, v3, 0
	v_or_b32_e32 v11, 8, v12
	v_mad_u64_u32 v[9:10], s[10:11], s20, v11, 0
	v_mov_b32_e32 v2, v5
	v_mad_u64_u32 v[5:6], s[10:11], s21, v3, v[2:3]
	v_mov_b32_e32 v2, v10
	v_mad_u64_u32 v[10:11], s[10:11], s21, v11, v[2:3]
	v_lshlrev_b32_e32 v14, 3, v13
	s_lshl_b64 s[12:13], s[20:21], 8
	v_lshlrev_b64 v[2:3], 3, v[7:8]
	v_lshlrev_b64 v[4:5], 3, v[4:5]
	;; [unrolled: 1-line block ×3, first 2 shown]
	v_mov_b32_e32 v8, s14
	v_lshl_or_b32 v15, v12, 8, v14
	s_mov_b64 s[18:19], 0
	v_mov_b32_e32 v27, s13
	v_mov_b32_e32 v9, s15
	s_branch .LBB10_3
.LBB10_2:                               ;   in Loop: Header=BB10_3 Depth=1
	s_or_b64 exec, exec, s[10:11]
	v_add_co_u32_e32 v17, vcc, 0x100, v17
	v_addc_co_u32_e32 v18, vcc, 0, v18, vcc
	v_add_co_u32_e32 v19, vcc, 0x100, v19
	v_addc_co_u32_e32 v20, vcc, 0, v20, vcc
	;; [unrolled: 2-line block ×3, first 2 shown]
	s_add_u32 s18, s18, 32
	v_add_co_u32_e32 v23, vcc, 0x100, v23
	s_addc_u32 s19, s19, 0
	v_addc_co_u32_e32 v24, vcc, 0, v24, vcc
	v_cmp_lt_i64_e32 vcc, s[18:19], v[8:9]
	v_add_co_u32_e64 v25, s[10:11], s12, v25
	v_addc_co_u32_e64 v26, s[10:11], v26, v27, s[10:11]
	s_cbranch_vccz .LBB10_20
.LBB10_3:                               ; =>This Inner Loop Header: Depth=1
	v_mov_b32_e32 v11, s19
	v_add_co_u32_e32 v10, vcc, s18, v12
	v_addc_co_u32_e32 v11, vcc, 0, v11, vcc
	v_cmp_gt_i64_e32 vcc, s[14:15], v[10:11]
	s_and_b64 s[20:21], s[0:1], vcc
	s_waitcnt vmcnt(0)
	s_barrier
	s_and_saveexec_b64 s[10:11], s[20:21]
	s_cbranch_execz .LBB10_5
; %bb.4:                                ;   in Loop: Header=BB10_3 Depth=1
	v_add_co_u32_e32 v28, vcc, v25, v0
	v_addc_co_u32_e32 v29, vcc, v26, v1, vcc
	global_load_dwordx2 v[28:29], v[28:29], off
	s_waitcnt vmcnt(0)
	ds_write_b64 v15, v[28:29]
.LBB10_5:                               ;   in Loop: Header=BB10_3 Depth=1
	s_or_b64 exec, exec, s[10:11]
	s_and_saveexec_b64 s[10:11], s[0:1]
	s_cbranch_execz .LBB10_12
; %bb.6:                                ;   in Loop: Header=BB10_3 Depth=1
	v_add_co_u32_e32 v28, vcc, 8, v10
	v_addc_co_u32_e32 v29, vcc, 0, v11, vcc
	v_cmp_gt_i64_e32 vcc, s[14:15], v[28:29]
	s_and_saveexec_b64 s[20:21], vcc
	s_cbranch_execz .LBB10_8
; %bb.7:                                ;   in Loop: Header=BB10_3 Depth=1
	v_add_co_u32_e32 v28, vcc, v25, v6
	v_addc_co_u32_e32 v29, vcc, v26, v7, vcc
	global_load_dwordx2 v[28:29], v[28:29], off
	s_waitcnt vmcnt(0)
	ds_write_b64 v15, v[28:29] offset:2048
.LBB10_8:                               ;   in Loop: Header=BB10_3 Depth=1
	s_or_b64 exec, exec, s[20:21]
	v_add_co_u32_e32 v28, vcc, 16, v10
	v_addc_co_u32_e32 v29, vcc, 0, v11, vcc
	v_cmp_gt_i64_e32 vcc, s[14:15], v[28:29]
	s_and_saveexec_b64 s[20:21], vcc
	s_cbranch_execz .LBB10_10
; %bb.9:                                ;   in Loop: Header=BB10_3 Depth=1
	v_add_co_u32_e32 v28, vcc, v25, v4
	v_addc_co_u32_e32 v29, vcc, v26, v5, vcc
	global_load_dwordx2 v[28:29], v[28:29], off
	s_waitcnt vmcnt(0)
	ds_write_b64 v15, v[28:29] offset:4096
.LBB10_10:                              ;   in Loop: Header=BB10_3 Depth=1
	s_or_b64 exec, exec, s[20:21]
	v_add_co_u32_e32 v10, vcc, 24, v10
	v_addc_co_u32_e32 v11, vcc, 0, v11, vcc
	v_cmp_gt_i64_e32 vcc, s[14:15], v[10:11]
	s_and_b64 exec, exec, vcc
	s_cbranch_execz .LBB10_12
; %bb.11:                               ;   in Loop: Header=BB10_3 Depth=1
	v_add_co_u32_e32 v10, vcc, v25, v2
	v_addc_co_u32_e32 v11, vcc, v26, v3, vcc
	global_load_dwordx2 v[10:11], v[10:11], off
	s_waitcnt vmcnt(0)
	ds_write_b64 v15, v[10:11] offset:6144
.LBB10_12:                              ;   in Loop: Header=BB10_3 Depth=1
	s_or_b64 exec, exec, s[10:11]
	v_mov_b32_e32 v11, s19
	v_add_co_u32_e32 v10, vcc, s18, v13
	v_addc_co_u32_e32 v11, vcc, 0, v11, vcc
	v_cmp_le_i64_e32 vcc, s[14:15], v[10:11]
	s_waitcnt lgkmcnt(0)
	s_nor_b64 s[10:11], vcc, s[2:3]
	s_barrier
	s_and_saveexec_b64 s[20:21], s[10:11]
	s_cbranch_execnz .LBB10_16
; %bb.13:                               ;   in Loop: Header=BB10_3 Depth=1
	s_or_b64 exec, exec, s[20:21]
	s_nor_b64 s[10:11], vcc, s[4:5]
	s_and_saveexec_b64 s[20:21], s[10:11]
	s_cbranch_execnz .LBB10_17
.LBB10_14:                              ;   in Loop: Header=BB10_3 Depth=1
	s_or_b64 exec, exec, s[20:21]
	s_nor_b64 s[10:11], vcc, s[6:7]
	s_and_saveexec_b64 s[20:21], s[10:11]
	s_cbranch_execnz .LBB10_18
.LBB10_15:                              ;   in Loop: Header=BB10_3 Depth=1
	s_or_b64 exec, exec, s[20:21]
	s_nor_b64 s[20:21], vcc, s[8:9]
	s_and_saveexec_b64 s[10:11], s[20:21]
	s_cbranch_execz .LBB10_2
	s_branch .LBB10_19
.LBB10_16:                              ;   in Loop: Header=BB10_3 Depth=1
	ds_read_b64 v[10:11], v16
	v_add_co_u32_e64 v28, s[10:11], v17, v14
	v_addc_co_u32_e64 v29, s[10:11], 0, v18, s[10:11]
	s_waitcnt lgkmcnt(0)
	v_mul_f64 v[10:11], s[16:17], v[10:11]
	global_store_dwordx2 v[28:29], v[10:11], off
	s_or_b64 exec, exec, s[20:21]
	s_nor_b64 s[10:11], vcc, s[4:5]
	s_and_saveexec_b64 s[20:21], s[10:11]
	s_cbranch_execz .LBB10_14
.LBB10_17:                              ;   in Loop: Header=BB10_3 Depth=1
	ds_read_b64 v[10:11], v16 offset:64
	v_add_co_u32_e64 v28, s[10:11], v19, v14
	v_addc_co_u32_e64 v29, s[10:11], 0, v20, s[10:11]
	s_waitcnt lgkmcnt(0)
	v_mul_f64 v[10:11], s[16:17], v[10:11]
	global_store_dwordx2 v[28:29], v[10:11], off
	s_or_b64 exec, exec, s[20:21]
	s_nor_b64 s[10:11], vcc, s[6:7]
	s_and_saveexec_b64 s[20:21], s[10:11]
	s_cbranch_execz .LBB10_15
.LBB10_18:                              ;   in Loop: Header=BB10_3 Depth=1
	ds_read_b64 v[10:11], v16 offset:128
	v_add_co_u32_e64 v28, s[10:11], v21, v14
	v_addc_co_u32_e64 v29, s[10:11], 0, v22, s[10:11]
	s_waitcnt lgkmcnt(0)
	v_mul_f64 v[10:11], s[16:17], v[10:11]
	global_store_dwordx2 v[28:29], v[10:11], off
	s_or_b64 exec, exec, s[20:21]
	s_nor_b64 s[20:21], vcc, s[8:9]
	s_and_saveexec_b64 s[10:11], s[20:21]
	s_cbranch_execz .LBB10_2
.LBB10_19:                              ;   in Loop: Header=BB10_3 Depth=1
	ds_read_b64 v[10:11], v16 offset:192
	v_add_co_u32_e32 v28, vcc, v23, v14
	v_addc_co_u32_e32 v29, vcc, 0, v24, vcc
	s_waitcnt lgkmcnt(0)
	v_mul_f64 v[10:11], s[16:17], v[10:11]
	global_store_dwordx2 v[28:29], v[10:11], off
	s_branch .LBB10_2
.LBB10_20:
	s_endpgm
	.section	.rodata,"a",@progbits
	.p2align	6, 0x0
	.amdhsa_kernel _ZN9rocsparseL22dense_transpose_kernelILj32ELj8ElddEEvT1_S1_T3_PKT2_lPS3_l
		.amdhsa_group_segment_fixed_size 8192
		.amdhsa_private_segment_fixed_size 0
		.amdhsa_kernarg_size 56
		.amdhsa_user_sgpr_count 6
		.amdhsa_user_sgpr_private_segment_buffer 1
		.amdhsa_user_sgpr_dispatch_ptr 0
		.amdhsa_user_sgpr_queue_ptr 0
		.amdhsa_user_sgpr_kernarg_segment_ptr 1
		.amdhsa_user_sgpr_dispatch_id 0
		.amdhsa_user_sgpr_flat_scratch_init 0
		.amdhsa_user_sgpr_private_segment_size 0
		.amdhsa_uses_dynamic_stack 0
		.amdhsa_system_sgpr_private_segment_wavefront_offset 0
		.amdhsa_system_sgpr_workgroup_id_x 1
		.amdhsa_system_sgpr_workgroup_id_y 0
		.amdhsa_system_sgpr_workgroup_id_z 0
		.amdhsa_system_sgpr_workgroup_info 0
		.amdhsa_system_vgpr_workitem_id 0
		.amdhsa_next_free_vgpr 30
		.amdhsa_next_free_sgpr 61
		.amdhsa_reserve_vcc 1
		.amdhsa_reserve_flat_scratch 0
		.amdhsa_float_round_mode_32 0
		.amdhsa_float_round_mode_16_64 0
		.amdhsa_float_denorm_mode_32 3
		.amdhsa_float_denorm_mode_16_64 3
		.amdhsa_dx10_clamp 1
		.amdhsa_ieee_mode 1
		.amdhsa_fp16_overflow 0
		.amdhsa_exception_fp_ieee_invalid_op 0
		.amdhsa_exception_fp_denorm_src 0
		.amdhsa_exception_fp_ieee_div_zero 0
		.amdhsa_exception_fp_ieee_overflow 0
		.amdhsa_exception_fp_ieee_underflow 0
		.amdhsa_exception_fp_ieee_inexact 0
		.amdhsa_exception_int_div_zero 0
	.end_amdhsa_kernel
	.section	.text._ZN9rocsparseL22dense_transpose_kernelILj32ELj8ElddEEvT1_S1_T3_PKT2_lPS3_l,"axG",@progbits,_ZN9rocsparseL22dense_transpose_kernelILj32ELj8ElddEEvT1_S1_T3_PKT2_lPS3_l,comdat
.Lfunc_end10:
	.size	_ZN9rocsparseL22dense_transpose_kernelILj32ELj8ElddEEvT1_S1_T3_PKT2_lPS3_l, .Lfunc_end10-_ZN9rocsparseL22dense_transpose_kernelILj32ELj8ElddEEvT1_S1_T3_PKT2_lPS3_l
                                        ; -- End function
	.set _ZN9rocsparseL22dense_transpose_kernelILj32ELj8ElddEEvT1_S1_T3_PKT2_lPS3_l.num_vgpr, 30
	.set _ZN9rocsparseL22dense_transpose_kernelILj32ELj8ElddEEvT1_S1_T3_PKT2_lPS3_l.num_agpr, 0
	.set _ZN9rocsparseL22dense_transpose_kernelILj32ELj8ElddEEvT1_S1_T3_PKT2_lPS3_l.numbered_sgpr, 28
	.set _ZN9rocsparseL22dense_transpose_kernelILj32ELj8ElddEEvT1_S1_T3_PKT2_lPS3_l.num_named_barrier, 0
	.set _ZN9rocsparseL22dense_transpose_kernelILj32ELj8ElddEEvT1_S1_T3_PKT2_lPS3_l.private_seg_size, 0
	.set _ZN9rocsparseL22dense_transpose_kernelILj32ELj8ElddEEvT1_S1_T3_PKT2_lPS3_l.uses_vcc, 1
	.set _ZN9rocsparseL22dense_transpose_kernelILj32ELj8ElddEEvT1_S1_T3_PKT2_lPS3_l.uses_flat_scratch, 0
	.set _ZN9rocsparseL22dense_transpose_kernelILj32ELj8ElddEEvT1_S1_T3_PKT2_lPS3_l.has_dyn_sized_stack, 0
	.set _ZN9rocsparseL22dense_transpose_kernelILj32ELj8ElddEEvT1_S1_T3_PKT2_lPS3_l.has_recursion, 0
	.set _ZN9rocsparseL22dense_transpose_kernelILj32ELj8ElddEEvT1_S1_T3_PKT2_lPS3_l.has_indirect_call, 0
	.section	.AMDGPU.csdata,"",@progbits
; Kernel info:
; codeLenInByte = 1120
; TotalNumSgprs: 32
; NumVgprs: 30
; ScratchSize: 0
; MemoryBound: 0
; FloatMode: 240
; IeeeMode: 1
; LDSByteSize: 8192 bytes/workgroup (compile time only)
; SGPRBlocks: 8
; VGPRBlocks: 7
; NumSGPRsForWavesPerEU: 65
; NumVGPRsForWavesPerEU: 30
; Occupancy: 8
; WaveLimiterHint : 0
; COMPUTE_PGM_RSRC2:SCRATCH_EN: 0
; COMPUTE_PGM_RSRC2:USER_SGPR: 6
; COMPUTE_PGM_RSRC2:TRAP_HANDLER: 0
; COMPUTE_PGM_RSRC2:TGID_X_EN: 1
; COMPUTE_PGM_RSRC2:TGID_Y_EN: 0
; COMPUTE_PGM_RSRC2:TGID_Z_EN: 0
; COMPUTE_PGM_RSRC2:TIDIG_COMP_CNT: 0
	.section	.text._ZN9rocsparseL22dense_transpose_kernelILj32ELj8EldPKdEEvT1_S3_T3_PKT2_lPS5_l,"axG",@progbits,_ZN9rocsparseL22dense_transpose_kernelILj32ELj8EldPKdEEvT1_S3_T3_PKT2_lPS5_l,comdat
	.globl	_ZN9rocsparseL22dense_transpose_kernelILj32ELj8EldPKdEEvT1_S3_T3_PKT2_lPS5_l ; -- Begin function _ZN9rocsparseL22dense_transpose_kernelILj32ELj8EldPKdEEvT1_S3_T3_PKT2_lPS5_l
	.p2align	8
	.type	_ZN9rocsparseL22dense_transpose_kernelILj32ELj8EldPKdEEvT1_S3_T3_PKT2_lPS5_l,@function
_ZN9rocsparseL22dense_transpose_kernelILj32ELj8EldPKdEEvT1_S3_T3_PKT2_lPS5_l: ; @_ZN9rocsparseL22dense_transpose_kernelILj32ELj8EldPKdEEvT1_S3_T3_PKT2_lPS5_l
; %bb.0:
	s_load_dwordx8 s[12:19], s[4:5], 0x0
	s_waitcnt lgkmcnt(0)
	v_cmp_lt_i64_e64 s[0:1], s[14:15], 1
	s_and_b64 vcc, exec, s[0:1]
	s_cbranch_vccnz .LBB11_20
; %bb.1:
	s_load_dwordx8 s[20:27], s[4:5], 0x20
	s_lshl_b32 s0, s6, 5
	v_lshrrev_b32_e32 v12, 5, v0
	v_or_b32_e32 v1, s0, v12
	v_mov_b32_e32 v2, 0
	s_waitcnt lgkmcnt(0)
	v_mad_u64_u32 v[8:9], s[6:7], s24, v1, 0
	v_and_b32_e32 v13, 31, v0
	v_lshlrev_b32_e32 v0, 3, v12
	v_lshl_or_b32 v16, v13, 8, v0
	v_or_b32_e32 v5, 8, v1
	v_mov_b32_e32 v6, v2
	v_mov_b32_e32 v0, v9
                                        ; kill: killed $sgpr4_sgpr5
	v_cmp_le_i64_e64 s[2:3], s[12:13], v[1:2]
	v_cmp_le_i64_e64 s[4:5], s[12:13], v[5:6]
	v_or_b32_e32 v6, 16, v1
	v_or_b32_e32 v10, 24, v1
	v_mad_u64_u32 v[0:1], s[8:9], s25, v1, v[0:1]
	v_mov_b32_e32 v4, v2
	v_mov_b32_e32 v7, v2
	;; [unrolled: 1-line block ×3, first 2 shown]
	v_mad_u64_u32 v[1:2], s[10:11], s24, v5, 0
	v_mov_b32_e32 v9, v0
	v_cmp_le_i64_e64 s[6:7], s[12:13], v[6:7]
	v_lshlrev_b64 v[7:8], 3, v[8:9]
	v_mov_b32_e32 v0, v2
	v_mov_b32_e32 v9, s23
	v_mad_u64_u32 v[19:20], s[10:11], s25, v5, v[0:1]
	v_add_co_u32_e32 v17, vcc, s22, v7
	v_addc_co_u32_e32 v18, vcc, v9, v8, vcc
	v_mad_u64_u32 v[7:8], s[10:11], s24, v6, 0
	v_mov_b32_e32 v2, v19
	v_or_b32_e32 v3, s0, v13
	v_lshlrev_b64 v[0:1], 3, v[1:2]
	v_mov_b32_e32 v2, v8
	v_mad_u64_u32 v[5:6], s[10:11], s25, v6, v[2:3]
	v_add_co_u32_e32 v19, vcc, s22, v0
	v_addc_co_u32_e32 v20, vcc, v9, v1, vcc
	v_mad_u64_u32 v[0:1], s[10:11], s24, v10, 0
	v_mov_b32_e32 v8, v5
	v_lshlrev_b64 v[5:6], 3, v[7:8]
	v_mov_b32_e32 v7, s23
	v_mad_u64_u32 v[1:2], s[10:11], s25, v10, v[1:2]
	v_add_co_u32_e32 v21, vcc, s22, v5
	v_addc_co_u32_e32 v22, vcc, v7, v6, vcc
	v_mad_u64_u32 v[5:6], s[10:11], s20, v12, 0
	v_lshlrev_b64 v[0:1], 3, v[0:1]
	v_mov_b32_e32 v8, s23
	v_mov_b32_e32 v2, v6
	v_mad_u64_u32 v[6:7], s[10:11], s21, v12, v[2:3]
	v_add_co_u32_e32 v23, vcc, s22, v0
	v_or_b32_e32 v9, 24, v12
	v_addc_co_u32_e32 v24, vcc, v8, v1, vcc
	v_mad_u64_u32 v[7:8], s[10:11], s20, v9, 0
	v_cmp_gt_i64_e64 s[0:1], s[12:13], v[3:4]
	v_lshlrev_b64 v[2:3], 3, v[3:4]
	v_mov_b32_e32 v4, v8
	v_lshlrev_b64 v[0:1], 3, v[5:6]
	v_mad_u64_u32 v[4:5], s[10:11], s21, v9, v[4:5]
	v_mov_b32_e32 v6, s19
	v_add_co_u32_e32 v25, vcc, s18, v2
	v_addc_co_u32_e32 v26, vcc, v6, v3, vcc
	v_or_b32_e32 v3, 16, v12
	v_cmp_le_i64_e64 s[8:9], s[12:13], v[10:11]
	v_mov_b32_e32 v8, v4
	v_mad_u64_u32 v[4:5], s[10:11], s20, v3, 0
	v_or_b32_e32 v11, 8, v12
	v_mad_u64_u32 v[9:10], s[10:11], s20, v11, 0
	v_mov_b32_e32 v2, v5
	v_mad_u64_u32 v[5:6], s[10:11], s21, v3, v[2:3]
	v_mov_b32_e32 v2, v10
	v_mad_u64_u32 v[10:11], s[10:11], s21, v11, v[2:3]
	s_load_dwordx2 s[26:27], s[16:17], 0x0
	v_lshlrev_b32_e32 v14, 3, v13
	s_lshl_b64 s[12:13], s[20:21], 8
	v_lshlrev_b64 v[2:3], 3, v[7:8]
	v_lshlrev_b64 v[4:5], 3, v[4:5]
	;; [unrolled: 1-line block ×3, first 2 shown]
	v_mov_b32_e32 v8, s14
                                        ; kill: killed $sgpr16_sgpr17
	v_lshl_or_b32 v15, v12, 8, v14
	s_mov_b64 s[16:17], 0
	v_mov_b32_e32 v27, s13
	v_mov_b32_e32 v9, s15
	s_branch .LBB11_3
.LBB11_2:                               ;   in Loop: Header=BB11_3 Depth=1
	s_or_b64 exec, exec, s[10:11]
	v_add_co_u32_e32 v17, vcc, 0x100, v17
	v_addc_co_u32_e32 v18, vcc, 0, v18, vcc
	v_add_co_u32_e32 v19, vcc, 0x100, v19
	v_addc_co_u32_e32 v20, vcc, 0, v20, vcc
	;; [unrolled: 2-line block ×3, first 2 shown]
	s_add_u32 s16, s16, 32
	v_add_co_u32_e32 v23, vcc, 0x100, v23
	s_addc_u32 s17, s17, 0
	v_addc_co_u32_e32 v24, vcc, 0, v24, vcc
	v_cmp_lt_i64_e32 vcc, s[16:17], v[8:9]
	v_add_co_u32_e64 v25, s[10:11], s12, v25
	v_addc_co_u32_e64 v26, s[10:11], v26, v27, s[10:11]
	s_cbranch_vccz .LBB11_20
.LBB11_3:                               ; =>This Inner Loop Header: Depth=1
	v_mov_b32_e32 v11, s17
	v_add_co_u32_e32 v10, vcc, s16, v12
	v_addc_co_u32_e32 v11, vcc, 0, v11, vcc
	v_cmp_gt_i64_e32 vcc, s[14:15], v[10:11]
	s_waitcnt lgkmcnt(0)
	s_and_b64 s[18:19], s[0:1], vcc
	s_waitcnt vmcnt(0)
	s_barrier
	s_and_saveexec_b64 s[10:11], s[18:19]
	s_cbranch_execz .LBB11_5
; %bb.4:                                ;   in Loop: Header=BB11_3 Depth=1
	v_add_co_u32_e32 v28, vcc, v25, v0
	v_addc_co_u32_e32 v29, vcc, v26, v1, vcc
	global_load_dwordx2 v[28:29], v[28:29], off
	s_waitcnt vmcnt(0)
	ds_write_b64 v15, v[28:29]
.LBB11_5:                               ;   in Loop: Header=BB11_3 Depth=1
	s_or_b64 exec, exec, s[10:11]
	s_and_saveexec_b64 s[10:11], s[0:1]
	s_cbranch_execz .LBB11_12
; %bb.6:                                ;   in Loop: Header=BB11_3 Depth=1
	v_add_co_u32_e32 v28, vcc, 8, v10
	v_addc_co_u32_e32 v29, vcc, 0, v11, vcc
	v_cmp_gt_i64_e32 vcc, s[14:15], v[28:29]
	s_and_saveexec_b64 s[18:19], vcc
	s_cbranch_execz .LBB11_8
; %bb.7:                                ;   in Loop: Header=BB11_3 Depth=1
	v_add_co_u32_e32 v28, vcc, v25, v6
	v_addc_co_u32_e32 v29, vcc, v26, v7, vcc
	global_load_dwordx2 v[28:29], v[28:29], off
	s_waitcnt vmcnt(0)
	ds_write_b64 v15, v[28:29] offset:2048
.LBB11_8:                               ;   in Loop: Header=BB11_3 Depth=1
	s_or_b64 exec, exec, s[18:19]
	v_add_co_u32_e32 v28, vcc, 16, v10
	v_addc_co_u32_e32 v29, vcc, 0, v11, vcc
	v_cmp_gt_i64_e32 vcc, s[14:15], v[28:29]
	s_and_saveexec_b64 s[18:19], vcc
	s_cbranch_execz .LBB11_10
; %bb.9:                                ;   in Loop: Header=BB11_3 Depth=1
	v_add_co_u32_e32 v28, vcc, v25, v4
	v_addc_co_u32_e32 v29, vcc, v26, v5, vcc
	global_load_dwordx2 v[28:29], v[28:29], off
	s_waitcnt vmcnt(0)
	ds_write_b64 v15, v[28:29] offset:4096
.LBB11_10:                              ;   in Loop: Header=BB11_3 Depth=1
	s_or_b64 exec, exec, s[18:19]
	v_add_co_u32_e32 v10, vcc, 24, v10
	v_addc_co_u32_e32 v11, vcc, 0, v11, vcc
	v_cmp_gt_i64_e32 vcc, s[14:15], v[10:11]
	s_and_b64 exec, exec, vcc
	s_cbranch_execz .LBB11_12
; %bb.11:                               ;   in Loop: Header=BB11_3 Depth=1
	v_add_co_u32_e32 v10, vcc, v25, v2
	v_addc_co_u32_e32 v11, vcc, v26, v3, vcc
	global_load_dwordx2 v[10:11], v[10:11], off
	s_waitcnt vmcnt(0)
	ds_write_b64 v15, v[10:11] offset:6144
.LBB11_12:                              ;   in Loop: Header=BB11_3 Depth=1
	s_or_b64 exec, exec, s[10:11]
	v_mov_b32_e32 v11, s17
	v_add_co_u32_e32 v10, vcc, s16, v13
	v_addc_co_u32_e32 v11, vcc, 0, v11, vcc
	v_cmp_le_i64_e32 vcc, s[14:15], v[10:11]
	s_waitcnt lgkmcnt(0)
	s_nor_b64 s[10:11], vcc, s[2:3]
	s_barrier
	s_and_saveexec_b64 s[18:19], s[10:11]
	s_cbranch_execnz .LBB11_16
; %bb.13:                               ;   in Loop: Header=BB11_3 Depth=1
	s_or_b64 exec, exec, s[18:19]
	s_nor_b64 s[10:11], vcc, s[4:5]
	s_and_saveexec_b64 s[18:19], s[10:11]
	s_cbranch_execnz .LBB11_17
.LBB11_14:                              ;   in Loop: Header=BB11_3 Depth=1
	s_or_b64 exec, exec, s[18:19]
	s_nor_b64 s[10:11], vcc, s[6:7]
	s_and_saveexec_b64 s[18:19], s[10:11]
	s_cbranch_execnz .LBB11_18
.LBB11_15:                              ;   in Loop: Header=BB11_3 Depth=1
	s_or_b64 exec, exec, s[18:19]
	s_nor_b64 s[18:19], vcc, s[8:9]
	s_and_saveexec_b64 s[10:11], s[18:19]
	s_cbranch_execz .LBB11_2
	s_branch .LBB11_19
.LBB11_16:                              ;   in Loop: Header=BB11_3 Depth=1
	ds_read_b64 v[10:11], v16
	v_add_co_u32_e64 v28, s[10:11], v17, v14
	v_addc_co_u32_e64 v29, s[10:11], 0, v18, s[10:11]
	s_waitcnt lgkmcnt(0)
	v_mul_f64 v[10:11], s[26:27], v[10:11]
	global_store_dwordx2 v[28:29], v[10:11], off
	s_or_b64 exec, exec, s[18:19]
	s_nor_b64 s[10:11], vcc, s[4:5]
	s_and_saveexec_b64 s[18:19], s[10:11]
	s_cbranch_execz .LBB11_14
.LBB11_17:                              ;   in Loop: Header=BB11_3 Depth=1
	ds_read_b64 v[10:11], v16 offset:64
	v_add_co_u32_e64 v28, s[10:11], v19, v14
	v_addc_co_u32_e64 v29, s[10:11], 0, v20, s[10:11]
	s_waitcnt lgkmcnt(0)
	v_mul_f64 v[10:11], s[26:27], v[10:11]
	global_store_dwordx2 v[28:29], v[10:11], off
	s_or_b64 exec, exec, s[18:19]
	s_nor_b64 s[10:11], vcc, s[6:7]
	s_and_saveexec_b64 s[18:19], s[10:11]
	s_cbranch_execz .LBB11_15
.LBB11_18:                              ;   in Loop: Header=BB11_3 Depth=1
	ds_read_b64 v[10:11], v16 offset:128
	v_add_co_u32_e64 v28, s[10:11], v21, v14
	v_addc_co_u32_e64 v29, s[10:11], 0, v22, s[10:11]
	s_waitcnt lgkmcnt(0)
	v_mul_f64 v[10:11], s[26:27], v[10:11]
	global_store_dwordx2 v[28:29], v[10:11], off
	s_or_b64 exec, exec, s[18:19]
	s_nor_b64 s[18:19], vcc, s[8:9]
	s_and_saveexec_b64 s[10:11], s[18:19]
	s_cbranch_execz .LBB11_2
.LBB11_19:                              ;   in Loop: Header=BB11_3 Depth=1
	ds_read_b64 v[10:11], v16 offset:192
	v_add_co_u32_e32 v28, vcc, v23, v14
	v_addc_co_u32_e32 v29, vcc, 0, v24, vcc
	s_waitcnt lgkmcnt(0)
	v_mul_f64 v[10:11], s[26:27], v[10:11]
	global_store_dwordx2 v[28:29], v[10:11], off
	s_branch .LBB11_2
.LBB11_20:
	s_endpgm
	.section	.rodata,"a",@progbits
	.p2align	6, 0x0
	.amdhsa_kernel _ZN9rocsparseL22dense_transpose_kernelILj32ELj8EldPKdEEvT1_S3_T3_PKT2_lPS5_l
		.amdhsa_group_segment_fixed_size 8192
		.amdhsa_private_segment_fixed_size 0
		.amdhsa_kernarg_size 56
		.amdhsa_user_sgpr_count 6
		.amdhsa_user_sgpr_private_segment_buffer 1
		.amdhsa_user_sgpr_dispatch_ptr 0
		.amdhsa_user_sgpr_queue_ptr 0
		.amdhsa_user_sgpr_kernarg_segment_ptr 1
		.amdhsa_user_sgpr_dispatch_id 0
		.amdhsa_user_sgpr_flat_scratch_init 0
		.amdhsa_user_sgpr_private_segment_size 0
		.amdhsa_uses_dynamic_stack 0
		.amdhsa_system_sgpr_private_segment_wavefront_offset 0
		.amdhsa_system_sgpr_workgroup_id_x 1
		.amdhsa_system_sgpr_workgroup_id_y 0
		.amdhsa_system_sgpr_workgroup_id_z 0
		.amdhsa_system_sgpr_workgroup_info 0
		.amdhsa_system_vgpr_workitem_id 0
		.amdhsa_next_free_vgpr 30
		.amdhsa_next_free_sgpr 61
		.amdhsa_reserve_vcc 1
		.amdhsa_reserve_flat_scratch 0
		.amdhsa_float_round_mode_32 0
		.amdhsa_float_round_mode_16_64 0
		.amdhsa_float_denorm_mode_32 3
		.amdhsa_float_denorm_mode_16_64 3
		.amdhsa_dx10_clamp 1
		.amdhsa_ieee_mode 1
		.amdhsa_fp16_overflow 0
		.amdhsa_exception_fp_ieee_invalid_op 0
		.amdhsa_exception_fp_denorm_src 0
		.amdhsa_exception_fp_ieee_div_zero 0
		.amdhsa_exception_fp_ieee_overflow 0
		.amdhsa_exception_fp_ieee_underflow 0
		.amdhsa_exception_fp_ieee_inexact 0
		.amdhsa_exception_int_div_zero 0
	.end_amdhsa_kernel
	.section	.text._ZN9rocsparseL22dense_transpose_kernelILj32ELj8EldPKdEEvT1_S3_T3_PKT2_lPS5_l,"axG",@progbits,_ZN9rocsparseL22dense_transpose_kernelILj32ELj8EldPKdEEvT1_S3_T3_PKT2_lPS5_l,comdat
.Lfunc_end11:
	.size	_ZN9rocsparseL22dense_transpose_kernelILj32ELj8EldPKdEEvT1_S3_T3_PKT2_lPS5_l, .Lfunc_end11-_ZN9rocsparseL22dense_transpose_kernelILj32ELj8EldPKdEEvT1_S3_T3_PKT2_lPS5_l
                                        ; -- End function
	.set _ZN9rocsparseL22dense_transpose_kernelILj32ELj8EldPKdEEvT1_S3_T3_PKT2_lPS5_l.num_vgpr, 30
	.set _ZN9rocsparseL22dense_transpose_kernelILj32ELj8EldPKdEEvT1_S3_T3_PKT2_lPS5_l.num_agpr, 0
	.set _ZN9rocsparseL22dense_transpose_kernelILj32ELj8EldPKdEEvT1_S3_T3_PKT2_lPS5_l.numbered_sgpr, 28
	.set _ZN9rocsparseL22dense_transpose_kernelILj32ELj8EldPKdEEvT1_S3_T3_PKT2_lPS5_l.num_named_barrier, 0
	.set _ZN9rocsparseL22dense_transpose_kernelILj32ELj8EldPKdEEvT1_S3_T3_PKT2_lPS5_l.private_seg_size, 0
	.set _ZN9rocsparseL22dense_transpose_kernelILj32ELj8EldPKdEEvT1_S3_T3_PKT2_lPS5_l.uses_vcc, 1
	.set _ZN9rocsparseL22dense_transpose_kernelILj32ELj8EldPKdEEvT1_S3_T3_PKT2_lPS5_l.uses_flat_scratch, 0
	.set _ZN9rocsparseL22dense_transpose_kernelILj32ELj8EldPKdEEvT1_S3_T3_PKT2_lPS5_l.has_dyn_sized_stack, 0
	.set _ZN9rocsparseL22dense_transpose_kernelILj32ELj8EldPKdEEvT1_S3_T3_PKT2_lPS5_l.has_recursion, 0
	.set _ZN9rocsparseL22dense_transpose_kernelILj32ELj8EldPKdEEvT1_S3_T3_PKT2_lPS5_l.has_indirect_call, 0
	.section	.AMDGPU.csdata,"",@progbits
; Kernel info:
; codeLenInByte = 1132
; TotalNumSgprs: 32
; NumVgprs: 30
; ScratchSize: 0
; MemoryBound: 0
; FloatMode: 240
; IeeeMode: 1
; LDSByteSize: 8192 bytes/workgroup (compile time only)
; SGPRBlocks: 8
; VGPRBlocks: 7
; NumSGPRsForWavesPerEU: 65
; NumVGPRsForWavesPerEU: 30
; Occupancy: 8
; WaveLimiterHint : 0
; COMPUTE_PGM_RSRC2:SCRATCH_EN: 0
; COMPUTE_PGM_RSRC2:USER_SGPR: 6
; COMPUTE_PGM_RSRC2:TRAP_HANDLER: 0
; COMPUTE_PGM_RSRC2:TGID_X_EN: 1
; COMPUTE_PGM_RSRC2:TGID_Y_EN: 0
; COMPUTE_PGM_RSRC2:TGID_Z_EN: 0
; COMPUTE_PGM_RSRC2:TIDIG_COMP_CNT: 0
	.section	.text._ZN9rocsparseL22dense_transpose_kernelILj32ELj8El21rocsparse_complex_numIfES2_EEvT1_S3_T3_PKT2_lPS5_l,"axG",@progbits,_ZN9rocsparseL22dense_transpose_kernelILj32ELj8El21rocsparse_complex_numIfES2_EEvT1_S3_T3_PKT2_lPS5_l,comdat
	.globl	_ZN9rocsparseL22dense_transpose_kernelILj32ELj8El21rocsparse_complex_numIfES2_EEvT1_S3_T3_PKT2_lPS5_l ; -- Begin function _ZN9rocsparseL22dense_transpose_kernelILj32ELj8El21rocsparse_complex_numIfES2_EEvT1_S3_T3_PKT2_lPS5_l
	.p2align	8
	.type	_ZN9rocsparseL22dense_transpose_kernelILj32ELj8El21rocsparse_complex_numIfES2_EEvT1_S3_T3_PKT2_lPS5_l,@function
_ZN9rocsparseL22dense_transpose_kernelILj32ELj8El21rocsparse_complex_numIfES2_EEvT1_S3_T3_PKT2_lPS5_l: ; @_ZN9rocsparseL22dense_transpose_kernelILj32ELj8El21rocsparse_complex_numIfES2_EEvT1_S3_T3_PKT2_lPS5_l
; %bb.0:
	s_load_dwordx4 s[20:23], s[4:5], 0x0
	s_waitcnt lgkmcnt(0)
	v_cmp_lt_i64_e64 s[0:1], s[22:23], 1
	s_and_b64 vcc, exec, s[0:1]
	s_cbranch_vccnz .LBB12_20
; %bb.1:
	s_load_dwordx2 s[24:25], s[4:5], 0x10
	s_load_dwordx8 s[12:19], s[4:5], 0x18
	s_lshl_b32 s0, s6, 5
	v_lshrrev_b32_e32 v10, 5, v0
	v_or_b32_e32 v1, s0, v10
	v_mov_b32_e32 v2, 0
	v_or_b32_e32 v5, 8, v1
	v_mov_b32_e32 v6, v2
	v_cmp_le_i64_e64 s[4:5], s[20:21], v[5:6]
	s_waitcnt lgkmcnt(0)
	v_mad_u64_u32 v[6:7], s[6:7], s18, v1, 0
	v_and_b32_e32 v11, 31, v0
	v_lshlrev_b32_e32 v0, 3, v10
	v_lshl_or_b32 v14, v11, 8, v0
	v_mov_b32_e32 v0, v7
	v_mad_u64_u32 v[15:16], s[8:9], s19, v1, v[0:1]
	v_cmp_le_i64_e64 s[2:3], s[20:21], v[1:2]
	v_or_b32_e32 v8, 16, v1
	v_mov_b32_e32 v7, v15
	v_or_b32_e32 v21, 24, v1
	v_lshlrev_b64 v[0:1], 3, v[6:7]
	v_mad_u64_u32 v[6:7], s[10:11], s18, v5, 0
	v_mov_b32_e32 v9, v2
	v_mov_b32_e32 v4, v2
	v_cmp_le_i64_e64 s[6:7], s[20:21], v[8:9]
	v_mov_b32_e32 v22, v2
	v_mov_b32_e32 v2, s17
	v_add_co_u32_e32 v9, vcc, s16, v0
	v_mov_b32_e32 v0, v7
	v_addc_co_u32_e32 v2, vcc, v2, v1, vcc
	v_mad_u64_u32 v[0:1], s[10:11], s19, v5, v[0:1]
	v_add_co_u32_e32 v15, vcc, 4, v9
	v_mov_b32_e32 v7, v0
	v_lshlrev_b64 v[0:1], 3, v[6:7]
	v_or_b32_e32 v7, 8, v10
	v_mad_u64_u32 v[5:6], s[10:11], s14, v7, 0
	v_addc_co_u32_e32 v16, vcc, 0, v2, vcc
	v_mov_b32_e32 v2, s17
	v_add_co_u32_e32 v9, vcc, s16, v0
	v_mov_b32_e32 v0, v6
	v_cmp_le_i64_e64 s[8:9], s[20:21], v[21:22]
	v_addc_co_u32_e32 v2, vcc, v2, v1, vcc
	v_mad_u64_u32 v[0:1], s[10:11], s15, v7, v[0:1]
	v_mad_u64_u32 v[22:23], s[10:11], s18, v8, 0
	v_or_b32_e32 v3, s0, v11
	v_add_co_u32_e32 v17, vcc, 4, v9
	v_cmp_gt_i64_e64 s[0:1], s[20:21], v[3:4]
	v_addc_co_u32_e32 v18, vcc, 0, v2, vcc
	v_mov_b32_e32 v6, v0
	v_lshlrev_b64 v[2:3], 3, v[3:4]
	v_mov_b32_e32 v4, v23
	v_lshlrev_b64 v[0:1], 3, v[5:6]
	v_mad_u64_u32 v[4:5], s[10:11], s19, v8, v[4:5]
	v_mov_b32_e32 v6, s13
	v_add_co_u32_e32 v19, vcc, s12, v2
	v_mov_b32_e32 v23, v4
	v_mad_u64_u32 v[4:5], s[10:11], s18, v21, 0
	v_addc_co_u32_e32 v20, vcc, v6, v3, vcc
	v_lshlrev_b64 v[2:3], 3, v[22:23]
	v_mov_b32_e32 v6, s17
	v_add_co_u32_e32 v7, vcc, s16, v2
	v_mov_b32_e32 v2, v5
	v_addc_co_u32_e32 v6, vcc, v6, v3, vcc
	v_mad_u64_u32 v[2:3], s[10:11], s19, v21, v[2:3]
	v_add_co_u32_e32 v21, vcc, 4, v7
	v_mov_b32_e32 v5, v2
	v_lshlrev_b64 v[2:3], 3, v[4:5]
	v_mad_u64_u32 v[4:5], s[10:11], s14, v10, 0
	v_addc_co_u32_e32 v22, vcc, 0, v6, vcc
	v_mov_b32_e32 v6, s17
	v_add_co_u32_e32 v7, vcc, s16, v2
	v_mov_b32_e32 v2, v5
	v_addc_co_u32_e32 v6, vcc, v6, v3, vcc
	v_mad_u64_u32 v[2:3], s[10:11], s15, v10, v[2:3]
	v_add_co_u32_e32 v23, vcc, 4, v7
	v_or_b32_e32 v3, 24, v10
	v_addc_co_u32_e32 v24, vcc, 0, v6, vcc
	v_mad_u64_u32 v[6:7], s[10:11], s14, v3, 0
	v_or_b32_e32 v27, 16, v10
	v_mad_u64_u32 v[8:9], s[10:11], s14, v27, 0
	v_mov_b32_e32 v5, v2
	v_mov_b32_e32 v2, v7
	v_mad_u64_u32 v[25:26], s[10:11], s15, v3, v[2:3]
	v_mov_b32_e32 v2, v9
	v_mad_u64_u32 v[26:27], s[10:11], s15, v27, v[2:3]
	v_mov_b32_e32 v7, v25
	v_lshlrev_b32_e32 v12, 3, v11
	v_mov_b32_e32 v9, v26
	v_lshlrev_b64 v[2:3], 3, v[4:5]
	v_lshlrev_b64 v[4:5], 3, v[6:7]
	;; [unrolled: 1-line block ×3, first 2 shown]
	v_lshl_or_b32 v13, v10, 8, v12
	s_lshl_b64 s[12:13], s[14:15], 8
	s_mov_b64 s[14:15], 0
	s_branch .LBB12_3
.LBB12_2:                               ;   in Loop: Header=BB12_3 Depth=1
	s_or_b64 exec, exec, s[10:11]
	v_add_co_u32_e32 v15, vcc, 0x100, v15
	v_addc_co_u32_e32 v16, vcc, 0, v16, vcc
	v_add_co_u32_e32 v17, vcc, 0x100, v17
	v_addc_co_u32_e32 v18, vcc, 0, v18, vcc
	v_mov_b32_e32 v8, s13
	v_add_co_u32_e32 v19, vcc, s12, v19
	v_addc_co_u32_e32 v20, vcc, v20, v8, vcc
	s_add_u32 s14, s14, 32
	v_add_co_u32_e32 v21, vcc, 0x100, v21
	v_mov_b32_e32 v8, s22
	s_addc_u32 s15, s15, 0
	v_addc_co_u32_e32 v22, vcc, 0, v22, vcc
	v_mov_b32_e32 v9, s23
	v_add_co_u32_e32 v23, vcc, 0x100, v23
	v_cmp_lt_i64_e64 s[10:11], s[14:15], v[8:9]
	v_addc_co_u32_e32 v24, vcc, 0, v24, vcc
	s_and_b64 vcc, exec, s[10:11]
	s_cbranch_vccz .LBB12_20
.LBB12_3:                               ; =>This Inner Loop Header: Depth=1
	v_mov_b32_e32 v9, s15
	v_add_co_u32_e32 v8, vcc, s14, v10
	v_addc_co_u32_e32 v9, vcc, 0, v9, vcc
	v_cmp_gt_i64_e32 vcc, s[22:23], v[8:9]
	s_and_b64 s[16:17], s[0:1], vcc
	s_waitcnt vmcnt(0)
	s_barrier
	s_and_saveexec_b64 s[10:11], s[16:17]
	s_cbranch_execz .LBB12_5
; %bb.4:                                ;   in Loop: Header=BB12_3 Depth=1
	v_add_co_u32_e32 v25, vcc, v19, v2
	v_addc_co_u32_e32 v26, vcc, v20, v3, vcc
	global_load_dwordx2 v[25:26], v[25:26], off
	s_waitcnt vmcnt(0)
	ds_write_b64 v13, v[25:26]
.LBB12_5:                               ;   in Loop: Header=BB12_3 Depth=1
	s_or_b64 exec, exec, s[10:11]
	s_and_saveexec_b64 s[10:11], s[0:1]
	s_cbranch_execz .LBB12_12
; %bb.6:                                ;   in Loop: Header=BB12_3 Depth=1
	v_add_co_u32_e32 v25, vcc, 8, v8
	v_addc_co_u32_e32 v26, vcc, 0, v9, vcc
	v_cmp_gt_i64_e32 vcc, s[22:23], v[25:26]
	s_and_saveexec_b64 s[16:17], vcc
	s_cbranch_execz .LBB12_8
; %bb.7:                                ;   in Loop: Header=BB12_3 Depth=1
	v_add_co_u32_e32 v25, vcc, v19, v0
	v_addc_co_u32_e32 v26, vcc, v20, v1, vcc
	global_load_dwordx2 v[25:26], v[25:26], off
	s_waitcnt vmcnt(0)
	ds_write_b64 v13, v[25:26] offset:2048
.LBB12_8:                               ;   in Loop: Header=BB12_3 Depth=1
	s_or_b64 exec, exec, s[16:17]
	v_add_co_u32_e32 v25, vcc, 16, v8
	v_addc_co_u32_e32 v26, vcc, 0, v9, vcc
	v_cmp_gt_i64_e32 vcc, s[22:23], v[25:26]
	s_and_saveexec_b64 s[16:17], vcc
	s_cbranch_execz .LBB12_10
; %bb.9:                                ;   in Loop: Header=BB12_3 Depth=1
	v_add_co_u32_e32 v25, vcc, v19, v6
	v_addc_co_u32_e32 v26, vcc, v20, v7, vcc
	global_load_dwordx2 v[25:26], v[25:26], off
	s_waitcnt vmcnt(0)
	ds_write_b64 v13, v[25:26] offset:4096
.LBB12_10:                              ;   in Loop: Header=BB12_3 Depth=1
	s_or_b64 exec, exec, s[16:17]
	v_add_co_u32_e32 v8, vcc, 24, v8
	v_addc_co_u32_e32 v9, vcc, 0, v9, vcc
	v_cmp_gt_i64_e32 vcc, s[22:23], v[8:9]
	s_and_b64 exec, exec, vcc
	s_cbranch_execz .LBB12_12
; %bb.11:                               ;   in Loop: Header=BB12_3 Depth=1
	v_add_co_u32_e32 v8, vcc, v19, v4
	v_addc_co_u32_e32 v9, vcc, v20, v5, vcc
	global_load_dwordx2 v[8:9], v[8:9], off
	s_waitcnt vmcnt(0)
	ds_write_b64 v13, v[8:9] offset:6144
.LBB12_12:                              ;   in Loop: Header=BB12_3 Depth=1
	s_or_b64 exec, exec, s[10:11]
	v_mov_b32_e32 v9, s15
	v_add_co_u32_e32 v8, vcc, s14, v11
	v_addc_co_u32_e32 v9, vcc, 0, v9, vcc
	v_cmp_le_i64_e32 vcc, s[22:23], v[8:9]
	s_waitcnt lgkmcnt(0)
	s_nor_b64 s[10:11], vcc, s[2:3]
	s_barrier
	s_and_saveexec_b64 s[16:17], s[10:11]
	s_cbranch_execnz .LBB12_16
; %bb.13:                               ;   in Loop: Header=BB12_3 Depth=1
	s_or_b64 exec, exec, s[16:17]
	s_nor_b64 s[10:11], vcc, s[4:5]
	s_and_saveexec_b64 s[16:17], s[10:11]
	s_cbranch_execnz .LBB12_17
.LBB12_14:                              ;   in Loop: Header=BB12_3 Depth=1
	s_or_b64 exec, exec, s[16:17]
	s_nor_b64 s[10:11], vcc, s[6:7]
	s_and_saveexec_b64 s[16:17], s[10:11]
	s_cbranch_execnz .LBB12_18
.LBB12_15:                              ;   in Loop: Header=BB12_3 Depth=1
	s_or_b64 exec, exec, s[16:17]
	s_nor_b64 s[16:17], vcc, s[8:9]
	s_and_saveexec_b64 s[10:11], s[16:17]
	s_cbranch_execz .LBB12_2
	s_branch .LBB12_19
.LBB12_16:                              ;   in Loop: Header=BB12_3 Depth=1
	ds_read_b64 v[8:9], v14
	s_waitcnt lgkmcnt(0)
	v_mul_f32_e64 v25, v9, -s25
	v_mul_f32_e32 v26, s24, v9
	v_fmac_f32_e32 v25, s24, v8
	v_fmac_f32_e32 v26, s25, v8
	v_add_co_u32_e64 v8, s[10:11], v15, v12
	v_addc_co_u32_e64 v9, s[10:11], 0, v16, s[10:11]
	global_store_dwordx2 v[8:9], v[25:26], off offset:-4
	s_or_b64 exec, exec, s[16:17]
	s_nor_b64 s[10:11], vcc, s[4:5]
	s_and_saveexec_b64 s[16:17], s[10:11]
	s_cbranch_execz .LBB12_14
.LBB12_17:                              ;   in Loop: Header=BB12_3 Depth=1
	ds_read_b64 v[8:9], v14 offset:64
	s_waitcnt lgkmcnt(0)
	v_mul_f32_e64 v25, v9, -s25
	v_mul_f32_e32 v26, s24, v9
	v_fmac_f32_e32 v25, s24, v8
	v_fmac_f32_e32 v26, s25, v8
	v_add_co_u32_e64 v8, s[10:11], v17, v12
	v_addc_co_u32_e64 v9, s[10:11], 0, v18, s[10:11]
	global_store_dwordx2 v[8:9], v[25:26], off offset:-4
	s_or_b64 exec, exec, s[16:17]
	s_nor_b64 s[10:11], vcc, s[6:7]
	s_and_saveexec_b64 s[16:17], s[10:11]
	s_cbranch_execz .LBB12_15
.LBB12_18:                              ;   in Loop: Header=BB12_3 Depth=1
	ds_read_b64 v[8:9], v14 offset:128
	s_waitcnt lgkmcnt(0)
	v_mul_f32_e64 v25, v9, -s25
	v_mul_f32_e32 v26, s24, v9
	v_fmac_f32_e32 v25, s24, v8
	v_fmac_f32_e32 v26, s25, v8
	v_add_co_u32_e64 v8, s[10:11], v21, v12
	v_addc_co_u32_e64 v9, s[10:11], 0, v22, s[10:11]
	global_store_dwordx2 v[8:9], v[25:26], off offset:-4
	s_or_b64 exec, exec, s[16:17]
	s_nor_b64 s[16:17], vcc, s[8:9]
	s_and_saveexec_b64 s[10:11], s[16:17]
	s_cbranch_execz .LBB12_2
.LBB12_19:                              ;   in Loop: Header=BB12_3 Depth=1
	ds_read_b64 v[8:9], v14 offset:192
	s_waitcnt lgkmcnt(0)
	v_mul_f32_e64 v25, v9, -s25
	v_mul_f32_e32 v26, s24, v9
	v_fmac_f32_e32 v25, s24, v8
	v_fmac_f32_e32 v26, s25, v8
	v_add_co_u32_e32 v8, vcc, v23, v12
	v_addc_co_u32_e32 v9, vcc, 0, v24, vcc
	global_store_dwordx2 v[8:9], v[25:26], off offset:-4
	s_branch .LBB12_2
.LBB12_20:
	s_endpgm
	.section	.rodata,"a",@progbits
	.p2align	6, 0x0
	.amdhsa_kernel _ZN9rocsparseL22dense_transpose_kernelILj32ELj8El21rocsparse_complex_numIfES2_EEvT1_S3_T3_PKT2_lPS5_l
		.amdhsa_group_segment_fixed_size 8192
		.amdhsa_private_segment_fixed_size 0
		.amdhsa_kernarg_size 56
		.amdhsa_user_sgpr_count 6
		.amdhsa_user_sgpr_private_segment_buffer 1
		.amdhsa_user_sgpr_dispatch_ptr 0
		.amdhsa_user_sgpr_queue_ptr 0
		.amdhsa_user_sgpr_kernarg_segment_ptr 1
		.amdhsa_user_sgpr_dispatch_id 0
		.amdhsa_user_sgpr_flat_scratch_init 0
		.amdhsa_user_sgpr_private_segment_size 0
		.amdhsa_uses_dynamic_stack 0
		.amdhsa_system_sgpr_private_segment_wavefront_offset 0
		.amdhsa_system_sgpr_workgroup_id_x 1
		.amdhsa_system_sgpr_workgroup_id_y 0
		.amdhsa_system_sgpr_workgroup_id_z 0
		.amdhsa_system_sgpr_workgroup_info 0
		.amdhsa_system_vgpr_workitem_id 0
		.amdhsa_next_free_vgpr 29
		.amdhsa_next_free_sgpr 61
		.amdhsa_reserve_vcc 1
		.amdhsa_reserve_flat_scratch 0
		.amdhsa_float_round_mode_32 0
		.amdhsa_float_round_mode_16_64 0
		.amdhsa_float_denorm_mode_32 3
		.amdhsa_float_denorm_mode_16_64 3
		.amdhsa_dx10_clamp 1
		.amdhsa_ieee_mode 1
		.amdhsa_fp16_overflow 0
		.amdhsa_exception_fp_ieee_invalid_op 0
		.amdhsa_exception_fp_denorm_src 0
		.amdhsa_exception_fp_ieee_div_zero 0
		.amdhsa_exception_fp_ieee_overflow 0
		.amdhsa_exception_fp_ieee_underflow 0
		.amdhsa_exception_fp_ieee_inexact 0
		.amdhsa_exception_int_div_zero 0
	.end_amdhsa_kernel
	.section	.text._ZN9rocsparseL22dense_transpose_kernelILj32ELj8El21rocsparse_complex_numIfES2_EEvT1_S3_T3_PKT2_lPS5_l,"axG",@progbits,_ZN9rocsparseL22dense_transpose_kernelILj32ELj8El21rocsparse_complex_numIfES2_EEvT1_S3_T3_PKT2_lPS5_l,comdat
.Lfunc_end12:
	.size	_ZN9rocsparseL22dense_transpose_kernelILj32ELj8El21rocsparse_complex_numIfES2_EEvT1_S3_T3_PKT2_lPS5_l, .Lfunc_end12-_ZN9rocsparseL22dense_transpose_kernelILj32ELj8El21rocsparse_complex_numIfES2_EEvT1_S3_T3_PKT2_lPS5_l
                                        ; -- End function
	.set _ZN9rocsparseL22dense_transpose_kernelILj32ELj8El21rocsparse_complex_numIfES2_EEvT1_S3_T3_PKT2_lPS5_l.num_vgpr, 28
	.set _ZN9rocsparseL22dense_transpose_kernelILj32ELj8El21rocsparse_complex_numIfES2_EEvT1_S3_T3_PKT2_lPS5_l.num_agpr, 0
	.set _ZN9rocsparseL22dense_transpose_kernelILj32ELj8El21rocsparse_complex_numIfES2_EEvT1_S3_T3_PKT2_lPS5_l.numbered_sgpr, 26
	.set _ZN9rocsparseL22dense_transpose_kernelILj32ELj8El21rocsparse_complex_numIfES2_EEvT1_S3_T3_PKT2_lPS5_l.num_named_barrier, 0
	.set _ZN9rocsparseL22dense_transpose_kernelILj32ELj8El21rocsparse_complex_numIfES2_EEvT1_S3_T3_PKT2_lPS5_l.private_seg_size, 0
	.set _ZN9rocsparseL22dense_transpose_kernelILj32ELj8El21rocsparse_complex_numIfES2_EEvT1_S3_T3_PKT2_lPS5_l.uses_vcc, 1
	.set _ZN9rocsparseL22dense_transpose_kernelILj32ELj8El21rocsparse_complex_numIfES2_EEvT1_S3_T3_PKT2_lPS5_l.uses_flat_scratch, 0
	.set _ZN9rocsparseL22dense_transpose_kernelILj32ELj8El21rocsparse_complex_numIfES2_EEvT1_S3_T3_PKT2_lPS5_l.has_dyn_sized_stack, 0
	.set _ZN9rocsparseL22dense_transpose_kernelILj32ELj8El21rocsparse_complex_numIfES2_EEvT1_S3_T3_PKT2_lPS5_l.has_recursion, 0
	.set _ZN9rocsparseL22dense_transpose_kernelILj32ELj8El21rocsparse_complex_numIfES2_EEvT1_S3_T3_PKT2_lPS5_l.has_indirect_call, 0
	.section	.AMDGPU.csdata,"",@progbits
; Kernel info:
; codeLenInByte = 1232
; TotalNumSgprs: 30
; NumVgprs: 28
; ScratchSize: 0
; MemoryBound: 0
; FloatMode: 240
; IeeeMode: 1
; LDSByteSize: 8192 bytes/workgroup (compile time only)
; SGPRBlocks: 8
; VGPRBlocks: 7
; NumSGPRsForWavesPerEU: 65
; NumVGPRsForWavesPerEU: 29
; Occupancy: 8
; WaveLimiterHint : 0
; COMPUTE_PGM_RSRC2:SCRATCH_EN: 0
; COMPUTE_PGM_RSRC2:USER_SGPR: 6
; COMPUTE_PGM_RSRC2:TRAP_HANDLER: 0
; COMPUTE_PGM_RSRC2:TGID_X_EN: 1
; COMPUTE_PGM_RSRC2:TGID_Y_EN: 0
; COMPUTE_PGM_RSRC2:TGID_Z_EN: 0
; COMPUTE_PGM_RSRC2:TIDIG_COMP_CNT: 0
	.section	.text._ZN9rocsparseL22dense_transpose_kernelILj32ELj8El21rocsparse_complex_numIfEPKS2_EEvT1_S5_T3_PKT2_lPS7_l,"axG",@progbits,_ZN9rocsparseL22dense_transpose_kernelILj32ELj8El21rocsparse_complex_numIfEPKS2_EEvT1_S5_T3_PKT2_lPS7_l,comdat
	.globl	_ZN9rocsparseL22dense_transpose_kernelILj32ELj8El21rocsparse_complex_numIfEPKS2_EEvT1_S5_T3_PKT2_lPS7_l ; -- Begin function _ZN9rocsparseL22dense_transpose_kernelILj32ELj8El21rocsparse_complex_numIfEPKS2_EEvT1_S5_T3_PKT2_lPS7_l
	.p2align	8
	.type	_ZN9rocsparseL22dense_transpose_kernelILj32ELj8El21rocsparse_complex_numIfEPKS2_EEvT1_S5_T3_PKT2_lPS7_l,@function
_ZN9rocsparseL22dense_transpose_kernelILj32ELj8El21rocsparse_complex_numIfEPKS2_EEvT1_S5_T3_PKT2_lPS7_l: ; @_ZN9rocsparseL22dense_transpose_kernelILj32ELj8El21rocsparse_complex_numIfEPKS2_EEvT1_S5_T3_PKT2_lPS7_l
; %bb.0:
	s_load_dwordx8 s[12:19], s[4:5], 0x0
	s_waitcnt lgkmcnt(0)
	v_cmp_lt_i64_e64 s[0:1], s[14:15], 1
	s_and_b64 vcc, exec, s[0:1]
	s_cbranch_vccnz .LBB13_20
; %bb.1:
	s_load_dwordx8 s[20:27], s[4:5], 0x20
	s_lshl_b32 s0, s6, 5
	v_lshrrev_b32_e32 v10, 5, v0
	v_or_b32_e32 v1, s0, v10
	v_mov_b32_e32 v2, 0
	v_or_b32_e32 v5, 8, v1
	v_mov_b32_e32 v6, v2
                                        ; kill: killed $sgpr4_sgpr5
	v_cmp_le_i64_e64 s[4:5], s[12:13], v[5:6]
	s_waitcnt lgkmcnt(0)
	v_mad_u64_u32 v[6:7], s[6:7], s24, v1, 0
	v_and_b32_e32 v11, 31, v0
	v_lshlrev_b32_e32 v0, 3, v10
	v_lshl_or_b32 v14, v11, 8, v0
	v_mov_b32_e32 v0, v7
	v_mad_u64_u32 v[15:16], s[8:9], s25, v1, v[0:1]
	v_cmp_le_i64_e64 s[2:3], s[12:13], v[1:2]
	v_or_b32_e32 v8, 16, v1
	v_mov_b32_e32 v7, v15
	v_or_b32_e32 v21, 24, v1
	v_lshlrev_b64 v[0:1], 3, v[6:7]
	v_mad_u64_u32 v[6:7], s[10:11], s24, v5, 0
	v_mov_b32_e32 v9, v2
	v_mov_b32_e32 v4, v2
	v_cmp_le_i64_e64 s[6:7], s[12:13], v[8:9]
	v_mov_b32_e32 v22, v2
	v_mov_b32_e32 v2, s23
	v_add_co_u32_e32 v9, vcc, s22, v0
	v_mov_b32_e32 v0, v7
	v_addc_co_u32_e32 v2, vcc, v2, v1, vcc
	v_mad_u64_u32 v[0:1], s[10:11], s25, v5, v[0:1]
	v_add_co_u32_e32 v15, vcc, 4, v9
	v_mov_b32_e32 v7, v0
	v_lshlrev_b64 v[0:1], 3, v[6:7]
	v_or_b32_e32 v7, 8, v10
	v_mad_u64_u32 v[5:6], s[10:11], s20, v7, 0
	v_addc_co_u32_e32 v16, vcc, 0, v2, vcc
	v_mov_b32_e32 v2, s23
	v_add_co_u32_e32 v9, vcc, s22, v0
	v_mov_b32_e32 v0, v6
	v_cmp_le_i64_e64 s[8:9], s[12:13], v[21:22]
	v_addc_co_u32_e32 v2, vcc, v2, v1, vcc
	v_mad_u64_u32 v[0:1], s[10:11], s21, v7, v[0:1]
	v_mad_u64_u32 v[22:23], s[10:11], s24, v8, 0
	v_or_b32_e32 v3, s0, v11
	v_add_co_u32_e32 v17, vcc, 4, v9
	v_cmp_gt_i64_e64 s[0:1], s[12:13], v[3:4]
	v_addc_co_u32_e32 v18, vcc, 0, v2, vcc
	v_mov_b32_e32 v6, v0
	v_lshlrev_b64 v[2:3], 3, v[3:4]
	v_mov_b32_e32 v4, v23
	v_lshlrev_b64 v[0:1], 3, v[5:6]
	v_mad_u64_u32 v[4:5], s[10:11], s25, v8, v[4:5]
	v_mov_b32_e32 v6, s19
	v_add_co_u32_e32 v19, vcc, s18, v2
	v_mov_b32_e32 v23, v4
	v_mad_u64_u32 v[4:5], s[10:11], s24, v21, 0
	v_addc_co_u32_e32 v20, vcc, v6, v3, vcc
	v_lshlrev_b64 v[2:3], 3, v[22:23]
	v_mov_b32_e32 v6, s23
	v_add_co_u32_e32 v7, vcc, s22, v2
	v_mov_b32_e32 v2, v5
	v_addc_co_u32_e32 v6, vcc, v6, v3, vcc
	v_mad_u64_u32 v[2:3], s[10:11], s25, v21, v[2:3]
	v_add_co_u32_e32 v21, vcc, 4, v7
	v_mov_b32_e32 v5, v2
	v_lshlrev_b64 v[2:3], 3, v[4:5]
	v_mad_u64_u32 v[4:5], s[10:11], s20, v10, 0
	v_addc_co_u32_e32 v22, vcc, 0, v6, vcc
	v_mov_b32_e32 v6, s23
	v_add_co_u32_e32 v7, vcc, s22, v2
	v_mov_b32_e32 v2, v5
	v_addc_co_u32_e32 v6, vcc, v6, v3, vcc
	v_mad_u64_u32 v[2:3], s[10:11], s21, v10, v[2:3]
	v_add_co_u32_e32 v23, vcc, 4, v7
	v_or_b32_e32 v3, 24, v10
	v_addc_co_u32_e32 v24, vcc, 0, v6, vcc
	v_mad_u64_u32 v[6:7], s[10:11], s20, v3, 0
	v_or_b32_e32 v27, 16, v10
	v_mad_u64_u32 v[8:9], s[10:11], s20, v27, 0
	v_mov_b32_e32 v5, v2
	v_mov_b32_e32 v2, v7
	v_mad_u64_u32 v[25:26], s[10:11], s21, v3, v[2:3]
	v_mov_b32_e32 v2, v9
	v_mad_u64_u32 v[26:27], s[10:11], s21, v27, v[2:3]
	s_load_dwordx2 s[26:27], s[16:17], 0x0
	v_mov_b32_e32 v7, v25
	v_mov_b32_e32 v9, v26
	v_lshlrev_b32_e32 v12, 3, v11
	v_lshlrev_b64 v[2:3], 3, v[4:5]
	v_lshlrev_b64 v[4:5], 3, v[6:7]
	;; [unrolled: 1-line block ×3, first 2 shown]
                                        ; kill: killed $sgpr16_sgpr17
	v_lshl_or_b32 v13, v10, 8, v12
	s_lshl_b64 s[12:13], s[20:21], 8
	s_mov_b64 s[16:17], 0
	s_branch .LBB13_3
.LBB13_2:                               ;   in Loop: Header=BB13_3 Depth=1
	s_or_b64 exec, exec, s[10:11]
	v_add_co_u32_e32 v15, vcc, 0x100, v15
	v_addc_co_u32_e32 v16, vcc, 0, v16, vcc
	v_add_co_u32_e32 v17, vcc, 0x100, v17
	v_addc_co_u32_e32 v18, vcc, 0, v18, vcc
	v_mov_b32_e32 v8, s13
	v_add_co_u32_e32 v19, vcc, s12, v19
	v_addc_co_u32_e32 v20, vcc, v20, v8, vcc
	s_add_u32 s16, s16, 32
	v_add_co_u32_e32 v21, vcc, 0x100, v21
	v_mov_b32_e32 v8, s14
	s_addc_u32 s17, s17, 0
	v_addc_co_u32_e32 v22, vcc, 0, v22, vcc
	v_mov_b32_e32 v9, s15
	v_add_co_u32_e32 v23, vcc, 0x100, v23
	v_cmp_lt_i64_e64 s[10:11], s[16:17], v[8:9]
	v_addc_co_u32_e32 v24, vcc, 0, v24, vcc
	s_and_b64 vcc, exec, s[10:11]
	s_cbranch_vccz .LBB13_20
.LBB13_3:                               ; =>This Inner Loop Header: Depth=1
	v_mov_b32_e32 v9, s17
	v_add_co_u32_e32 v8, vcc, s16, v10
	v_addc_co_u32_e32 v9, vcc, 0, v9, vcc
	v_cmp_gt_i64_e32 vcc, s[14:15], v[8:9]
	s_waitcnt lgkmcnt(0)
	s_and_b64 s[18:19], s[0:1], vcc
	s_waitcnt vmcnt(0)
	s_barrier
	s_and_saveexec_b64 s[10:11], s[18:19]
	s_cbranch_execz .LBB13_5
; %bb.4:                                ;   in Loop: Header=BB13_3 Depth=1
	v_add_co_u32_e32 v25, vcc, v19, v2
	v_addc_co_u32_e32 v26, vcc, v20, v3, vcc
	global_load_dwordx2 v[25:26], v[25:26], off
	s_waitcnt vmcnt(0)
	ds_write_b64 v13, v[25:26]
.LBB13_5:                               ;   in Loop: Header=BB13_3 Depth=1
	s_or_b64 exec, exec, s[10:11]
	s_and_saveexec_b64 s[10:11], s[0:1]
	s_cbranch_execz .LBB13_12
; %bb.6:                                ;   in Loop: Header=BB13_3 Depth=1
	v_add_co_u32_e32 v25, vcc, 8, v8
	v_addc_co_u32_e32 v26, vcc, 0, v9, vcc
	v_cmp_gt_i64_e32 vcc, s[14:15], v[25:26]
	s_and_saveexec_b64 s[18:19], vcc
	s_cbranch_execz .LBB13_8
; %bb.7:                                ;   in Loop: Header=BB13_3 Depth=1
	v_add_co_u32_e32 v25, vcc, v19, v0
	v_addc_co_u32_e32 v26, vcc, v20, v1, vcc
	global_load_dwordx2 v[25:26], v[25:26], off
	s_waitcnt vmcnt(0)
	ds_write_b64 v13, v[25:26] offset:2048
.LBB13_8:                               ;   in Loop: Header=BB13_3 Depth=1
	s_or_b64 exec, exec, s[18:19]
	v_add_co_u32_e32 v25, vcc, 16, v8
	v_addc_co_u32_e32 v26, vcc, 0, v9, vcc
	v_cmp_gt_i64_e32 vcc, s[14:15], v[25:26]
	s_and_saveexec_b64 s[18:19], vcc
	s_cbranch_execz .LBB13_10
; %bb.9:                                ;   in Loop: Header=BB13_3 Depth=1
	v_add_co_u32_e32 v25, vcc, v19, v6
	v_addc_co_u32_e32 v26, vcc, v20, v7, vcc
	global_load_dwordx2 v[25:26], v[25:26], off
	s_waitcnt vmcnt(0)
	ds_write_b64 v13, v[25:26] offset:4096
.LBB13_10:                              ;   in Loop: Header=BB13_3 Depth=1
	s_or_b64 exec, exec, s[18:19]
	v_add_co_u32_e32 v8, vcc, 24, v8
	v_addc_co_u32_e32 v9, vcc, 0, v9, vcc
	v_cmp_gt_i64_e32 vcc, s[14:15], v[8:9]
	s_and_b64 exec, exec, vcc
	s_cbranch_execz .LBB13_12
; %bb.11:                               ;   in Loop: Header=BB13_3 Depth=1
	v_add_co_u32_e32 v8, vcc, v19, v4
	v_addc_co_u32_e32 v9, vcc, v20, v5, vcc
	global_load_dwordx2 v[8:9], v[8:9], off
	s_waitcnt vmcnt(0)
	ds_write_b64 v13, v[8:9] offset:6144
.LBB13_12:                              ;   in Loop: Header=BB13_3 Depth=1
	s_or_b64 exec, exec, s[10:11]
	v_mov_b32_e32 v9, s17
	v_add_co_u32_e32 v8, vcc, s16, v11
	v_addc_co_u32_e32 v9, vcc, 0, v9, vcc
	v_cmp_le_i64_e32 vcc, s[14:15], v[8:9]
	s_waitcnt lgkmcnt(0)
	s_nor_b64 s[10:11], vcc, s[2:3]
	s_barrier
	s_and_saveexec_b64 s[18:19], s[10:11]
	s_cbranch_execnz .LBB13_16
; %bb.13:                               ;   in Loop: Header=BB13_3 Depth=1
	s_or_b64 exec, exec, s[18:19]
	s_nor_b64 s[10:11], vcc, s[4:5]
	s_and_saveexec_b64 s[18:19], s[10:11]
	s_cbranch_execnz .LBB13_17
.LBB13_14:                              ;   in Loop: Header=BB13_3 Depth=1
	s_or_b64 exec, exec, s[18:19]
	s_nor_b64 s[10:11], vcc, s[6:7]
	s_and_saveexec_b64 s[18:19], s[10:11]
	s_cbranch_execnz .LBB13_18
.LBB13_15:                              ;   in Loop: Header=BB13_3 Depth=1
	s_or_b64 exec, exec, s[18:19]
	s_nor_b64 s[18:19], vcc, s[8:9]
	s_and_saveexec_b64 s[10:11], s[18:19]
	s_cbranch_execz .LBB13_2
	s_branch .LBB13_19
.LBB13_16:                              ;   in Loop: Header=BB13_3 Depth=1
	ds_read_b64 v[8:9], v14
	s_waitcnt lgkmcnt(0)
	v_mul_f32_e64 v25, v9, -s27
	v_mul_f32_e32 v26, s26, v9
	v_fmac_f32_e32 v25, s26, v8
	v_fmac_f32_e32 v26, s27, v8
	v_add_co_u32_e64 v8, s[10:11], v15, v12
	v_addc_co_u32_e64 v9, s[10:11], 0, v16, s[10:11]
	global_store_dwordx2 v[8:9], v[25:26], off offset:-4
	s_or_b64 exec, exec, s[18:19]
	s_nor_b64 s[10:11], vcc, s[4:5]
	s_and_saveexec_b64 s[18:19], s[10:11]
	s_cbranch_execz .LBB13_14
.LBB13_17:                              ;   in Loop: Header=BB13_3 Depth=1
	ds_read_b64 v[8:9], v14 offset:64
	s_waitcnt lgkmcnt(0)
	v_mul_f32_e64 v25, v9, -s27
	v_mul_f32_e32 v26, s26, v9
	v_fmac_f32_e32 v25, s26, v8
	v_fmac_f32_e32 v26, s27, v8
	v_add_co_u32_e64 v8, s[10:11], v17, v12
	v_addc_co_u32_e64 v9, s[10:11], 0, v18, s[10:11]
	global_store_dwordx2 v[8:9], v[25:26], off offset:-4
	s_or_b64 exec, exec, s[18:19]
	s_nor_b64 s[10:11], vcc, s[6:7]
	s_and_saveexec_b64 s[18:19], s[10:11]
	s_cbranch_execz .LBB13_15
.LBB13_18:                              ;   in Loop: Header=BB13_3 Depth=1
	ds_read_b64 v[8:9], v14 offset:128
	s_waitcnt lgkmcnt(0)
	v_mul_f32_e64 v25, v9, -s27
	v_mul_f32_e32 v26, s26, v9
	v_fmac_f32_e32 v25, s26, v8
	v_fmac_f32_e32 v26, s27, v8
	v_add_co_u32_e64 v8, s[10:11], v21, v12
	v_addc_co_u32_e64 v9, s[10:11], 0, v22, s[10:11]
	global_store_dwordx2 v[8:9], v[25:26], off offset:-4
	s_or_b64 exec, exec, s[18:19]
	s_nor_b64 s[18:19], vcc, s[8:9]
	s_and_saveexec_b64 s[10:11], s[18:19]
	s_cbranch_execz .LBB13_2
.LBB13_19:                              ;   in Loop: Header=BB13_3 Depth=1
	ds_read_b64 v[8:9], v14 offset:192
	s_waitcnt lgkmcnt(0)
	v_mul_f32_e64 v25, v9, -s27
	v_mul_f32_e32 v26, s26, v9
	v_fmac_f32_e32 v25, s26, v8
	v_fmac_f32_e32 v26, s27, v8
	v_add_co_u32_e32 v8, vcc, v23, v12
	v_addc_co_u32_e32 v9, vcc, 0, v24, vcc
	global_store_dwordx2 v[8:9], v[25:26], off offset:-4
	s_branch .LBB13_2
.LBB13_20:
	s_endpgm
	.section	.rodata,"a",@progbits
	.p2align	6, 0x0
	.amdhsa_kernel _ZN9rocsparseL22dense_transpose_kernelILj32ELj8El21rocsparse_complex_numIfEPKS2_EEvT1_S5_T3_PKT2_lPS7_l
		.amdhsa_group_segment_fixed_size 8192
		.amdhsa_private_segment_fixed_size 0
		.amdhsa_kernarg_size 56
		.amdhsa_user_sgpr_count 6
		.amdhsa_user_sgpr_private_segment_buffer 1
		.amdhsa_user_sgpr_dispatch_ptr 0
		.amdhsa_user_sgpr_queue_ptr 0
		.amdhsa_user_sgpr_kernarg_segment_ptr 1
		.amdhsa_user_sgpr_dispatch_id 0
		.amdhsa_user_sgpr_flat_scratch_init 0
		.amdhsa_user_sgpr_private_segment_size 0
		.amdhsa_uses_dynamic_stack 0
		.amdhsa_system_sgpr_private_segment_wavefront_offset 0
		.amdhsa_system_sgpr_workgroup_id_x 1
		.amdhsa_system_sgpr_workgroup_id_y 0
		.amdhsa_system_sgpr_workgroup_id_z 0
		.amdhsa_system_sgpr_workgroup_info 0
		.amdhsa_system_vgpr_workitem_id 0
		.amdhsa_next_free_vgpr 29
		.amdhsa_next_free_sgpr 61
		.amdhsa_reserve_vcc 1
		.amdhsa_reserve_flat_scratch 0
		.amdhsa_float_round_mode_32 0
		.amdhsa_float_round_mode_16_64 0
		.amdhsa_float_denorm_mode_32 3
		.amdhsa_float_denorm_mode_16_64 3
		.amdhsa_dx10_clamp 1
		.amdhsa_ieee_mode 1
		.amdhsa_fp16_overflow 0
		.amdhsa_exception_fp_ieee_invalid_op 0
		.amdhsa_exception_fp_denorm_src 0
		.amdhsa_exception_fp_ieee_div_zero 0
		.amdhsa_exception_fp_ieee_overflow 0
		.amdhsa_exception_fp_ieee_underflow 0
		.amdhsa_exception_fp_ieee_inexact 0
		.amdhsa_exception_int_div_zero 0
	.end_amdhsa_kernel
	.section	.text._ZN9rocsparseL22dense_transpose_kernelILj32ELj8El21rocsparse_complex_numIfEPKS2_EEvT1_S5_T3_PKT2_lPS7_l,"axG",@progbits,_ZN9rocsparseL22dense_transpose_kernelILj32ELj8El21rocsparse_complex_numIfEPKS2_EEvT1_S5_T3_PKT2_lPS7_l,comdat
.Lfunc_end13:
	.size	_ZN9rocsparseL22dense_transpose_kernelILj32ELj8El21rocsparse_complex_numIfEPKS2_EEvT1_S5_T3_PKT2_lPS7_l, .Lfunc_end13-_ZN9rocsparseL22dense_transpose_kernelILj32ELj8El21rocsparse_complex_numIfEPKS2_EEvT1_S5_T3_PKT2_lPS7_l
                                        ; -- End function
	.set _ZN9rocsparseL22dense_transpose_kernelILj32ELj8El21rocsparse_complex_numIfEPKS2_EEvT1_S5_T3_PKT2_lPS7_l.num_vgpr, 28
	.set _ZN9rocsparseL22dense_transpose_kernelILj32ELj8El21rocsparse_complex_numIfEPKS2_EEvT1_S5_T3_PKT2_lPS7_l.num_agpr, 0
	.set _ZN9rocsparseL22dense_transpose_kernelILj32ELj8El21rocsparse_complex_numIfEPKS2_EEvT1_S5_T3_PKT2_lPS7_l.numbered_sgpr, 28
	.set _ZN9rocsparseL22dense_transpose_kernelILj32ELj8El21rocsparse_complex_numIfEPKS2_EEvT1_S5_T3_PKT2_lPS7_l.num_named_barrier, 0
	.set _ZN9rocsparseL22dense_transpose_kernelILj32ELj8El21rocsparse_complex_numIfEPKS2_EEvT1_S5_T3_PKT2_lPS7_l.private_seg_size, 0
	.set _ZN9rocsparseL22dense_transpose_kernelILj32ELj8El21rocsparse_complex_numIfEPKS2_EEvT1_S5_T3_PKT2_lPS7_l.uses_vcc, 1
	.set _ZN9rocsparseL22dense_transpose_kernelILj32ELj8El21rocsparse_complex_numIfEPKS2_EEvT1_S5_T3_PKT2_lPS7_l.uses_flat_scratch, 0
	.set _ZN9rocsparseL22dense_transpose_kernelILj32ELj8El21rocsparse_complex_numIfEPKS2_EEvT1_S5_T3_PKT2_lPS7_l.has_dyn_sized_stack, 0
	.set _ZN9rocsparseL22dense_transpose_kernelILj32ELj8El21rocsparse_complex_numIfEPKS2_EEvT1_S5_T3_PKT2_lPS7_l.has_recursion, 0
	.set _ZN9rocsparseL22dense_transpose_kernelILj32ELj8El21rocsparse_complex_numIfEPKS2_EEvT1_S5_T3_PKT2_lPS7_l.has_indirect_call, 0
	.section	.AMDGPU.csdata,"",@progbits
; Kernel info:
; codeLenInByte = 1236
; TotalNumSgprs: 32
; NumVgprs: 28
; ScratchSize: 0
; MemoryBound: 0
; FloatMode: 240
; IeeeMode: 1
; LDSByteSize: 8192 bytes/workgroup (compile time only)
; SGPRBlocks: 8
; VGPRBlocks: 7
; NumSGPRsForWavesPerEU: 65
; NumVGPRsForWavesPerEU: 29
; Occupancy: 8
; WaveLimiterHint : 0
; COMPUTE_PGM_RSRC2:SCRATCH_EN: 0
; COMPUTE_PGM_RSRC2:USER_SGPR: 6
; COMPUTE_PGM_RSRC2:TRAP_HANDLER: 0
; COMPUTE_PGM_RSRC2:TGID_X_EN: 1
; COMPUTE_PGM_RSRC2:TGID_Y_EN: 0
; COMPUTE_PGM_RSRC2:TGID_Z_EN: 0
; COMPUTE_PGM_RSRC2:TIDIG_COMP_CNT: 0
	.section	.text._ZN9rocsparseL22dense_transpose_kernelILj32ELj8El21rocsparse_complex_numIdES2_EEvT1_S3_T3_PKT2_lPS5_l,"axG",@progbits,_ZN9rocsparseL22dense_transpose_kernelILj32ELj8El21rocsparse_complex_numIdES2_EEvT1_S3_T3_PKT2_lPS5_l,comdat
	.globl	_ZN9rocsparseL22dense_transpose_kernelILj32ELj8El21rocsparse_complex_numIdES2_EEvT1_S3_T3_PKT2_lPS5_l ; -- Begin function _ZN9rocsparseL22dense_transpose_kernelILj32ELj8El21rocsparse_complex_numIdES2_EEvT1_S3_T3_PKT2_lPS5_l
	.p2align	8
	.type	_ZN9rocsparseL22dense_transpose_kernelILj32ELj8El21rocsparse_complex_numIdES2_EEvT1_S3_T3_PKT2_lPS5_l,@function
_ZN9rocsparseL22dense_transpose_kernelILj32ELj8El21rocsparse_complex_numIdES2_EEvT1_S3_T3_PKT2_lPS5_l: ; @_ZN9rocsparseL22dense_transpose_kernelILj32ELj8El21rocsparse_complex_numIdES2_EEvT1_S3_T3_PKT2_lPS5_l
; %bb.0:
	s_load_dwordx16 s[12:27], s[4:5], 0x0
	s_waitcnt lgkmcnt(0)
	v_cmp_lt_i64_e64 s[0:1], s[14:15], 1
	s_and_b64 vcc, exec, s[0:1]
	s_cbranch_vccnz .LBB14_20
; %bb.1:
	s_lshl_b32 s0, s6, 5
	v_lshrrev_b32_e32 v12, 5, v0
	v_or_b32_e32 v1, s0, v12
	v_mov_b32_e32 v2, 0
	v_or_b32_e32 v5, 8, v1
	v_mov_b32_e32 v6, v2
	v_cmp_le_i64_e64 s[4:5], s[12:13], v[5:6]
	v_mad_u64_u32 v[6:7], s[6:7], s26, v1, 0
	v_and_b32_e32 v13, 31, v0
	v_lshlrev_b32_e32 v0, 4, v12
	v_lshl_or_b32 v16, v13, 9, v0
	v_or_b32_e32 v8, 16, v1
	v_mov_b32_e32 v9, v2
	v_mov_b32_e32 v0, v7
	v_cmp_le_i64_e64 s[6:7], s[12:13], v[8:9]
	v_mad_u64_u32 v[9:10], s[8:9], s27, v1, v[0:1]
	v_cmp_le_i64_e64 s[2:3], s[12:13], v[1:2]
	v_or_b32_e32 v10, 24, v1
	v_mov_b32_e32 v7, v9
	v_lshlrev_b64 v[0:1], 4, v[6:7]
	v_mad_u64_u32 v[6:7], s[10:11], s26, v5, 0
	v_mov_b32_e32 v4, v2
	v_mov_b32_e32 v11, v2
	;; [unrolled: 1-line block ×3, first 2 shown]
	v_add_co_u32_e32 v9, vcc, s24, v0
	v_mov_b32_e32 v0, v7
	v_addc_co_u32_e32 v2, vcc, v2, v1, vcc
	v_mad_u64_u32 v[0:1], s[10:11], s27, v5, v[0:1]
	v_add_co_u32_e32 v20, vcc, 8, v9
	v_mov_b32_e32 v7, v0
	v_lshlrev_b64 v[0:1], 4, v[6:7]
	v_or_b32_e32 v7, 8, v12
	v_mad_u64_u32 v[5:6], s[10:11], s22, v7, 0
	v_addc_co_u32_e32 v21, vcc, 0, v2, vcc
	v_mov_b32_e32 v2, s25
	v_add_co_u32_e32 v9, vcc, s24, v0
	v_mov_b32_e32 v0, v6
	v_addc_co_u32_e32 v2, vcc, v2, v1, vcc
	v_mad_u64_u32 v[0:1], s[10:11], s23, v7, v[0:1]
	v_mad_u64_u32 v[26:27], s[10:11], s26, v8, 0
	v_or_b32_e32 v3, s0, v13
	v_add_co_u32_e32 v22, vcc, 8, v9
	v_cmp_gt_i64_e64 s[0:1], s[12:13], v[3:4]
	v_addc_co_u32_e32 v23, vcc, 0, v2, vcc
	v_mov_b32_e32 v6, v0
	v_lshlrev_b64 v[2:3], 4, v[3:4]
	v_mov_b32_e32 v4, v27
	v_lshlrev_b64 v[0:1], 4, v[5:6]
	v_mad_u64_u32 v[4:5], s[10:11], s27, v8, v[4:5]
	v_mov_b32_e32 v6, s21
	v_add_co_u32_e32 v24, vcc, s20, v2
	v_mov_b32_e32 v27, v4
	v_mad_u64_u32 v[4:5], s[10:11], s26, v10, 0
	v_addc_co_u32_e32 v25, vcc, v6, v3, vcc
	v_lshlrev_b64 v[2:3], 4, v[26:27]
	v_mov_b32_e32 v6, s25
	v_add_co_u32_e32 v7, vcc, s24, v2
	v_mov_b32_e32 v2, v5
	v_addc_co_u32_e32 v6, vcc, v6, v3, vcc
	v_mad_u64_u32 v[2:3], s[10:11], s27, v10, v[2:3]
	v_add_co_u32_e32 v26, vcc, 8, v7
	v_mov_b32_e32 v5, v2
	v_lshlrev_b64 v[2:3], 4, v[4:5]
	v_mad_u64_u32 v[4:5], s[10:11], s22, v12, 0
	v_addc_co_u32_e32 v27, vcc, 0, v6, vcc
	v_mov_b32_e32 v6, s25
	v_add_co_u32_e32 v7, vcc, s24, v2
	v_mov_b32_e32 v2, v5
	v_addc_co_u32_e32 v6, vcc, v6, v3, vcc
	v_mad_u64_u32 v[2:3], s[10:11], s23, v12, v[2:3]
	v_add_co_u32_e32 v28, vcc, 8, v7
	v_or_b32_e32 v3, 24, v12
	v_addc_co_u32_e32 v29, vcc, 0, v6, vcc
	v_mad_u64_u32 v[6:7], s[10:11], s22, v3, 0
	v_or_b32_e32 v30, 16, v12
	v_mad_u64_u32 v[8:9], s[10:11], s22, v30, 0
	v_mov_b32_e32 v5, v2
	v_mov_b32_e32 v2, v7
	v_cmp_le_i64_e64 s[8:9], s[12:13], v[10:11]
	v_mad_u64_u32 v[10:11], s[10:11], s23, v3, v[2:3]
	v_mov_b32_e32 v2, v9
	v_mad_u64_u32 v[30:31], s[10:11], s23, v30, v[2:3]
	v_lshlrev_b32_e32 v14, 4, v13
	v_mov_b32_e32 v7, v10
	v_mov_b32_e32 v9, v30
	v_lshl_or_b32 v15, v12, 9, v14
	s_lshl_b64 s[12:13], s[22:23], 9
	v_lshlrev_b64 v[2:3], 4, v[4:5]
	v_lshlrev_b64 v[4:5], 4, v[6:7]
	;; [unrolled: 1-line block ×3, first 2 shown]
	v_mov_b32_e32 v8, s14
	v_or_b32_e32 v17, 0x1000, v15
	v_or_b32_e32 v18, 0x2000, v15
	;; [unrolled: 1-line block ×3, first 2 shown]
	s_mov_b64 s[20:21], 0
	v_mov_b32_e32 v30, s13
	v_mov_b32_e32 v9, s15
	s_branch .LBB14_3
.LBB14_2:                               ;   in Loop: Header=BB14_3 Depth=1
	s_or_b64 exec, exec, s[10:11]
	v_add_co_u32_e32 v20, vcc, 0x200, v20
	v_addc_co_u32_e32 v21, vcc, 0, v21, vcc
	v_add_co_u32_e32 v22, vcc, 0x200, v22
	v_addc_co_u32_e32 v23, vcc, 0, v23, vcc
	;; [unrolled: 2-line block ×3, first 2 shown]
	s_add_u32 s20, s20, 32
	v_add_co_u32_e32 v26, vcc, 0x200, v26
	s_addc_u32 s21, s21, 0
	v_addc_co_u32_e32 v27, vcc, 0, v27, vcc
	v_add_co_u32_e32 v28, vcc, 0x200, v28
	v_cmp_lt_i64_e64 s[10:11], s[20:21], v[8:9]
	v_addc_co_u32_e32 v29, vcc, 0, v29, vcc
	s_and_b64 vcc, exec, s[10:11]
	s_cbranch_vccz .LBB14_20
.LBB14_3:                               ; =>This Inner Loop Header: Depth=1
	v_mov_b32_e32 v11, s21
	v_add_co_u32_e32 v10, vcc, s20, v12
	v_addc_co_u32_e32 v11, vcc, 0, v11, vcc
	v_cmp_gt_i64_e32 vcc, s[14:15], v[10:11]
	s_and_b64 s[22:23], s[0:1], vcc
	s_waitcnt vmcnt(0)
	s_barrier
	s_and_saveexec_b64 s[10:11], s[22:23]
	s_cbranch_execz .LBB14_5
; %bb.4:                                ;   in Loop: Header=BB14_3 Depth=1
	v_add_co_u32_e32 v31, vcc, v24, v2
	v_addc_co_u32_e32 v32, vcc, v25, v3, vcc
	global_load_dwordx4 v[31:34], v[31:32], off
	s_waitcnt vmcnt(0)
	ds_write2_b64 v15, v[31:32], v[33:34] offset1:1
.LBB14_5:                               ;   in Loop: Header=BB14_3 Depth=1
	s_or_b64 exec, exec, s[10:11]
	s_and_saveexec_b64 s[10:11], s[0:1]
	s_cbranch_execz .LBB14_12
; %bb.6:                                ;   in Loop: Header=BB14_3 Depth=1
	v_add_co_u32_e32 v31, vcc, 8, v10
	v_addc_co_u32_e32 v32, vcc, 0, v11, vcc
	v_cmp_gt_i64_e32 vcc, s[14:15], v[31:32]
	s_and_saveexec_b64 s[22:23], vcc
	s_cbranch_execz .LBB14_8
; %bb.7:                                ;   in Loop: Header=BB14_3 Depth=1
	v_add_co_u32_e32 v31, vcc, v24, v0
	v_addc_co_u32_e32 v32, vcc, v25, v1, vcc
	global_load_dwordx4 v[31:34], v[31:32], off
	s_waitcnt vmcnt(0)
	ds_write2_b64 v17, v[31:32], v[33:34] offset1:1
.LBB14_8:                               ;   in Loop: Header=BB14_3 Depth=1
	s_or_b64 exec, exec, s[22:23]
	v_add_co_u32_e32 v31, vcc, 16, v10
	v_addc_co_u32_e32 v32, vcc, 0, v11, vcc
	v_cmp_gt_i64_e32 vcc, s[14:15], v[31:32]
	s_and_saveexec_b64 s[22:23], vcc
	s_cbranch_execz .LBB14_10
; %bb.9:                                ;   in Loop: Header=BB14_3 Depth=1
	v_add_co_u32_e32 v31, vcc, v24, v6
	v_addc_co_u32_e32 v32, vcc, v25, v7, vcc
	global_load_dwordx4 v[31:34], v[31:32], off
	s_waitcnt vmcnt(0)
	ds_write2_b64 v18, v[31:32], v[33:34] offset1:1
.LBB14_10:                              ;   in Loop: Header=BB14_3 Depth=1
	s_or_b64 exec, exec, s[22:23]
	v_add_co_u32_e32 v10, vcc, 24, v10
	v_addc_co_u32_e32 v11, vcc, 0, v11, vcc
	v_cmp_gt_i64_e32 vcc, s[14:15], v[10:11]
	s_and_b64 exec, exec, vcc
	s_cbranch_execz .LBB14_12
; %bb.11:                               ;   in Loop: Header=BB14_3 Depth=1
	v_add_co_u32_e32 v10, vcc, v24, v4
	v_addc_co_u32_e32 v11, vcc, v25, v5, vcc
	global_load_dwordx4 v[31:34], v[10:11], off
	s_waitcnt vmcnt(0)
	ds_write2_b64 v19, v[31:32], v[33:34] offset1:1
.LBB14_12:                              ;   in Loop: Header=BB14_3 Depth=1
	s_or_b64 exec, exec, s[10:11]
	v_mov_b32_e32 v11, s21
	v_add_co_u32_e32 v10, vcc, s20, v13
	v_addc_co_u32_e32 v11, vcc, 0, v11, vcc
	v_cmp_le_i64_e32 vcc, s[14:15], v[10:11]
	s_waitcnt lgkmcnt(0)
	s_nor_b64 s[10:11], vcc, s[2:3]
	s_barrier
	s_and_saveexec_b64 s[22:23], s[10:11]
	s_cbranch_execnz .LBB14_16
; %bb.13:                               ;   in Loop: Header=BB14_3 Depth=1
	s_or_b64 exec, exec, s[22:23]
	s_nor_b64 s[10:11], vcc, s[4:5]
	s_and_saveexec_b64 s[22:23], s[10:11]
	s_cbranch_execnz .LBB14_17
.LBB14_14:                              ;   in Loop: Header=BB14_3 Depth=1
	s_or_b64 exec, exec, s[22:23]
	s_nor_b64 s[10:11], vcc, s[6:7]
	s_and_saveexec_b64 s[22:23], s[10:11]
	s_cbranch_execnz .LBB14_18
.LBB14_15:                              ;   in Loop: Header=BB14_3 Depth=1
	s_or_b64 exec, exec, s[22:23]
	s_nor_b64 s[22:23], vcc, s[8:9]
	s_and_saveexec_b64 s[10:11], s[22:23]
	s_cbranch_execz .LBB14_2
	s_branch .LBB14_19
.LBB14_16:                              ;   in Loop: Header=BB14_3 Depth=1
	ds_read_b128 v[31:34], v16
	s_waitcnt lgkmcnt(0)
	v_mul_f64 v[10:11], v[33:34], -s[18:19]
	v_mul_f64 v[35:36], s[16:17], v[33:34]
	v_fma_f64 v[33:34], s[16:17], v[31:32], v[10:11]
	v_fma_f64 v[35:36], s[18:19], v[31:32], v[35:36]
	v_add_co_u32_e64 v10, s[10:11], v20, v14
	v_addc_co_u32_e64 v11, s[10:11], 0, v21, s[10:11]
	global_store_dwordx4 v[10:11], v[33:36], off offset:-8
	s_or_b64 exec, exec, s[22:23]
	s_nor_b64 s[10:11], vcc, s[4:5]
	s_and_saveexec_b64 s[22:23], s[10:11]
	s_cbranch_execz .LBB14_14
.LBB14_17:                              ;   in Loop: Header=BB14_3 Depth=1
	ds_read_b128 v[31:34], v16 offset:128
	s_waitcnt lgkmcnt(0)
	v_mul_f64 v[10:11], v[33:34], -s[18:19]
	v_mul_f64 v[35:36], s[16:17], v[33:34]
	v_fma_f64 v[33:34], s[16:17], v[31:32], v[10:11]
	v_fma_f64 v[35:36], s[18:19], v[31:32], v[35:36]
	v_add_co_u32_e64 v10, s[10:11], v22, v14
	v_addc_co_u32_e64 v11, s[10:11], 0, v23, s[10:11]
	global_store_dwordx4 v[10:11], v[33:36], off offset:-8
	s_or_b64 exec, exec, s[22:23]
	s_nor_b64 s[10:11], vcc, s[6:7]
	s_and_saveexec_b64 s[22:23], s[10:11]
	s_cbranch_execz .LBB14_15
.LBB14_18:                              ;   in Loop: Header=BB14_3 Depth=1
	ds_read_b128 v[31:34], v16 offset:256
	s_waitcnt lgkmcnt(0)
	v_mul_f64 v[10:11], v[33:34], -s[18:19]
	v_mul_f64 v[35:36], s[16:17], v[33:34]
	v_fma_f64 v[33:34], s[16:17], v[31:32], v[10:11]
	v_fma_f64 v[35:36], s[18:19], v[31:32], v[35:36]
	v_add_co_u32_e64 v10, s[10:11], v26, v14
	v_addc_co_u32_e64 v11, s[10:11], 0, v27, s[10:11]
	global_store_dwordx4 v[10:11], v[33:36], off offset:-8
	s_or_b64 exec, exec, s[22:23]
	s_nor_b64 s[22:23], vcc, s[8:9]
	s_and_saveexec_b64 s[10:11], s[22:23]
	s_cbranch_execz .LBB14_2
.LBB14_19:                              ;   in Loop: Header=BB14_3 Depth=1
	ds_read_b128 v[31:34], v16 offset:384
	s_waitcnt lgkmcnt(0)
	v_mul_f64 v[10:11], v[33:34], -s[18:19]
	v_mul_f64 v[35:36], s[16:17], v[33:34]
	v_fma_f64 v[33:34], s[16:17], v[31:32], v[10:11]
	v_fma_f64 v[35:36], s[18:19], v[31:32], v[35:36]
	v_add_co_u32_e32 v10, vcc, v28, v14
	v_addc_co_u32_e32 v11, vcc, 0, v29, vcc
	global_store_dwordx4 v[10:11], v[33:36], off offset:-8
	s_branch .LBB14_2
.LBB14_20:
	s_endpgm
	.section	.rodata,"a",@progbits
	.p2align	6, 0x0
	.amdhsa_kernel _ZN9rocsparseL22dense_transpose_kernelILj32ELj8El21rocsparse_complex_numIdES2_EEvT1_S3_T3_PKT2_lPS5_l
		.amdhsa_group_segment_fixed_size 16384
		.amdhsa_private_segment_fixed_size 0
		.amdhsa_kernarg_size 64
		.amdhsa_user_sgpr_count 6
		.amdhsa_user_sgpr_private_segment_buffer 1
		.amdhsa_user_sgpr_dispatch_ptr 0
		.amdhsa_user_sgpr_queue_ptr 0
		.amdhsa_user_sgpr_kernarg_segment_ptr 1
		.amdhsa_user_sgpr_dispatch_id 0
		.amdhsa_user_sgpr_flat_scratch_init 0
		.amdhsa_user_sgpr_private_segment_size 0
		.amdhsa_uses_dynamic_stack 0
		.amdhsa_system_sgpr_private_segment_wavefront_offset 0
		.amdhsa_system_sgpr_workgroup_id_x 1
		.amdhsa_system_sgpr_workgroup_id_y 0
		.amdhsa_system_sgpr_workgroup_id_z 0
		.amdhsa_system_sgpr_workgroup_info 0
		.amdhsa_system_vgpr_workitem_id 0
		.amdhsa_next_free_vgpr 49
		.amdhsa_next_free_sgpr 98
		.amdhsa_reserve_vcc 1
		.amdhsa_reserve_flat_scratch 0
		.amdhsa_float_round_mode_32 0
		.amdhsa_float_round_mode_16_64 0
		.amdhsa_float_denorm_mode_32 3
		.amdhsa_float_denorm_mode_16_64 3
		.amdhsa_dx10_clamp 1
		.amdhsa_ieee_mode 1
		.amdhsa_fp16_overflow 0
		.amdhsa_exception_fp_ieee_invalid_op 0
		.amdhsa_exception_fp_denorm_src 0
		.amdhsa_exception_fp_ieee_div_zero 0
		.amdhsa_exception_fp_ieee_overflow 0
		.amdhsa_exception_fp_ieee_underflow 0
		.amdhsa_exception_fp_ieee_inexact 0
		.amdhsa_exception_int_div_zero 0
	.end_amdhsa_kernel
	.section	.text._ZN9rocsparseL22dense_transpose_kernelILj32ELj8El21rocsparse_complex_numIdES2_EEvT1_S3_T3_PKT2_lPS5_l,"axG",@progbits,_ZN9rocsparseL22dense_transpose_kernelILj32ELj8El21rocsparse_complex_numIdES2_EEvT1_S3_T3_PKT2_lPS5_l,comdat
.Lfunc_end14:
	.size	_ZN9rocsparseL22dense_transpose_kernelILj32ELj8El21rocsparse_complex_numIdES2_EEvT1_S3_T3_PKT2_lPS5_l, .Lfunc_end14-_ZN9rocsparseL22dense_transpose_kernelILj32ELj8El21rocsparse_complex_numIdES2_EEvT1_S3_T3_PKT2_lPS5_l
                                        ; -- End function
	.set _ZN9rocsparseL22dense_transpose_kernelILj32ELj8El21rocsparse_complex_numIdES2_EEvT1_S3_T3_PKT2_lPS5_l.num_vgpr, 37
	.set _ZN9rocsparseL22dense_transpose_kernelILj32ELj8El21rocsparse_complex_numIdES2_EEvT1_S3_T3_PKT2_lPS5_l.num_agpr, 0
	.set _ZN9rocsparseL22dense_transpose_kernelILj32ELj8El21rocsparse_complex_numIdES2_EEvT1_S3_T3_PKT2_lPS5_l.numbered_sgpr, 28
	.set _ZN9rocsparseL22dense_transpose_kernelILj32ELj8El21rocsparse_complex_numIdES2_EEvT1_S3_T3_PKT2_lPS5_l.num_named_barrier, 0
	.set _ZN9rocsparseL22dense_transpose_kernelILj32ELj8El21rocsparse_complex_numIdES2_EEvT1_S3_T3_PKT2_lPS5_l.private_seg_size, 0
	.set _ZN9rocsparseL22dense_transpose_kernelILj32ELj8El21rocsparse_complex_numIdES2_EEvT1_S3_T3_PKT2_lPS5_l.uses_vcc, 1
	.set _ZN9rocsparseL22dense_transpose_kernelILj32ELj8El21rocsparse_complex_numIdES2_EEvT1_S3_T3_PKT2_lPS5_l.uses_flat_scratch, 0
	.set _ZN9rocsparseL22dense_transpose_kernelILj32ELj8El21rocsparse_complex_numIdES2_EEvT1_S3_T3_PKT2_lPS5_l.has_dyn_sized_stack, 0
	.set _ZN9rocsparseL22dense_transpose_kernelILj32ELj8El21rocsparse_complex_numIdES2_EEvT1_S3_T3_PKT2_lPS5_l.has_recursion, 0
	.set _ZN9rocsparseL22dense_transpose_kernelILj32ELj8El21rocsparse_complex_numIdES2_EEvT1_S3_T3_PKT2_lPS5_l.has_indirect_call, 0
	.section	.AMDGPU.csdata,"",@progbits
; Kernel info:
; codeLenInByte = 1284
; TotalNumSgprs: 32
; NumVgprs: 37
; ScratchSize: 0
; MemoryBound: 0
; FloatMode: 240
; IeeeMode: 1
; LDSByteSize: 16384 bytes/workgroup (compile time only)
; SGPRBlocks: 12
; VGPRBlocks: 12
; NumSGPRsForWavesPerEU: 102
; NumVGPRsForWavesPerEU: 49
; Occupancy: 4
; WaveLimiterHint : 0
; COMPUTE_PGM_RSRC2:SCRATCH_EN: 0
; COMPUTE_PGM_RSRC2:USER_SGPR: 6
; COMPUTE_PGM_RSRC2:TRAP_HANDLER: 0
; COMPUTE_PGM_RSRC2:TGID_X_EN: 1
; COMPUTE_PGM_RSRC2:TGID_Y_EN: 0
; COMPUTE_PGM_RSRC2:TGID_Z_EN: 0
; COMPUTE_PGM_RSRC2:TIDIG_COMP_CNT: 0
	.section	.text._ZN9rocsparseL22dense_transpose_kernelILj32ELj8El21rocsparse_complex_numIdEPKS2_EEvT1_S5_T3_PKT2_lPS7_l,"axG",@progbits,_ZN9rocsparseL22dense_transpose_kernelILj32ELj8El21rocsparse_complex_numIdEPKS2_EEvT1_S5_T3_PKT2_lPS7_l,comdat
	.globl	_ZN9rocsparseL22dense_transpose_kernelILj32ELj8El21rocsparse_complex_numIdEPKS2_EEvT1_S5_T3_PKT2_lPS7_l ; -- Begin function _ZN9rocsparseL22dense_transpose_kernelILj32ELj8El21rocsparse_complex_numIdEPKS2_EEvT1_S5_T3_PKT2_lPS7_l
	.p2align	8
	.type	_ZN9rocsparseL22dense_transpose_kernelILj32ELj8El21rocsparse_complex_numIdEPKS2_EEvT1_S5_T3_PKT2_lPS7_l,@function
_ZN9rocsparseL22dense_transpose_kernelILj32ELj8El21rocsparse_complex_numIdEPKS2_EEvT1_S5_T3_PKT2_lPS7_l: ; @_ZN9rocsparseL22dense_transpose_kernelILj32ELj8El21rocsparse_complex_numIdEPKS2_EEvT1_S5_T3_PKT2_lPS7_l
; %bb.0:
	s_load_dwordx8 s[12:19], s[4:5], 0x0
	s_waitcnt lgkmcnt(0)
	v_cmp_lt_i64_e64 s[0:1], s[14:15], 1
	s_and_b64 vcc, exec, s[0:1]
	s_cbranch_vccnz .LBB15_20
; %bb.1:
	s_load_dwordx8 s[20:27], s[4:5], 0x20
	s_load_dwordx4 s[28:31], s[16:17], 0x0
	s_lshl_b32 s0, s6, 5
	v_lshrrev_b32_e32 v12, 5, v0
	v_or_b32_e32 v1, s0, v12
	v_mov_b32_e32 v2, 0
	v_or_b32_e32 v5, 8, v1
	v_mov_b32_e32 v6, v2
	v_cmp_le_i64_e64 s[4:5], s[12:13], v[5:6]
	s_waitcnt lgkmcnt(0)
	v_mad_u64_u32 v[6:7], s[6:7], s24, v1, 0
	v_and_b32_e32 v13, 31, v0
	v_lshlrev_b32_e32 v0, 4, v12
	v_lshl_or_b32 v16, v13, 9, v0
	v_or_b32_e32 v8, 16, v1
	v_mov_b32_e32 v9, v2
	v_mov_b32_e32 v0, v7
	v_cmp_le_i64_e64 s[6:7], s[12:13], v[8:9]
	v_mad_u64_u32 v[9:10], s[8:9], s25, v1, v[0:1]
	v_cmp_le_i64_e64 s[2:3], s[12:13], v[1:2]
	v_or_b32_e32 v10, 24, v1
	v_mov_b32_e32 v7, v9
	v_lshlrev_b64 v[0:1], 4, v[6:7]
	v_mad_u64_u32 v[6:7], s[10:11], s24, v5, 0
	v_mov_b32_e32 v4, v2
	v_mov_b32_e32 v11, v2
	;; [unrolled: 1-line block ×3, first 2 shown]
	v_add_co_u32_e32 v9, vcc, s22, v0
	v_mov_b32_e32 v0, v7
	v_addc_co_u32_e32 v2, vcc, v2, v1, vcc
	v_mad_u64_u32 v[0:1], s[10:11], s25, v5, v[0:1]
	v_add_co_u32_e32 v20, vcc, 8, v9
	v_mov_b32_e32 v7, v0
	v_lshlrev_b64 v[0:1], 4, v[6:7]
	v_or_b32_e32 v7, 8, v12
	v_mad_u64_u32 v[5:6], s[10:11], s20, v7, 0
	v_addc_co_u32_e32 v21, vcc, 0, v2, vcc
	v_mov_b32_e32 v2, s23
	v_add_co_u32_e32 v9, vcc, s22, v0
	v_mov_b32_e32 v0, v6
	v_addc_co_u32_e32 v2, vcc, v2, v1, vcc
	v_mad_u64_u32 v[0:1], s[10:11], s21, v7, v[0:1]
	v_mad_u64_u32 v[26:27], s[10:11], s24, v8, 0
	v_or_b32_e32 v3, s0, v13
	v_add_co_u32_e32 v22, vcc, 8, v9
	v_cmp_gt_i64_e64 s[0:1], s[12:13], v[3:4]
	v_addc_co_u32_e32 v23, vcc, 0, v2, vcc
	v_mov_b32_e32 v6, v0
	v_lshlrev_b64 v[2:3], 4, v[3:4]
	v_mov_b32_e32 v4, v27
	v_lshlrev_b64 v[0:1], 4, v[5:6]
	v_mad_u64_u32 v[4:5], s[10:11], s25, v8, v[4:5]
	v_mov_b32_e32 v6, s19
	v_add_co_u32_e32 v24, vcc, s18, v2
	v_mov_b32_e32 v27, v4
	v_mad_u64_u32 v[4:5], s[10:11], s24, v10, 0
	v_addc_co_u32_e32 v25, vcc, v6, v3, vcc
	v_lshlrev_b64 v[2:3], 4, v[26:27]
	v_mov_b32_e32 v6, s23
	v_add_co_u32_e32 v7, vcc, s22, v2
	v_mov_b32_e32 v2, v5
	v_addc_co_u32_e32 v6, vcc, v6, v3, vcc
	v_mad_u64_u32 v[2:3], s[10:11], s25, v10, v[2:3]
	v_add_co_u32_e32 v26, vcc, 8, v7
	v_mov_b32_e32 v5, v2
	v_lshlrev_b64 v[2:3], 4, v[4:5]
	v_mad_u64_u32 v[4:5], s[10:11], s20, v12, 0
	v_addc_co_u32_e32 v27, vcc, 0, v6, vcc
	v_mov_b32_e32 v6, s23
	v_add_co_u32_e32 v7, vcc, s22, v2
	v_mov_b32_e32 v2, v5
	v_addc_co_u32_e32 v6, vcc, v6, v3, vcc
	v_mad_u64_u32 v[2:3], s[10:11], s21, v12, v[2:3]
	v_add_co_u32_e32 v28, vcc, 8, v7
	v_or_b32_e32 v3, 24, v12
	v_addc_co_u32_e32 v29, vcc, 0, v6, vcc
	v_mad_u64_u32 v[6:7], s[10:11], s20, v3, 0
	v_or_b32_e32 v30, 16, v12
	v_mad_u64_u32 v[8:9], s[10:11], s20, v30, 0
	v_mov_b32_e32 v5, v2
	v_mov_b32_e32 v2, v7
	v_cmp_le_i64_e64 s[8:9], s[12:13], v[10:11]
	v_mad_u64_u32 v[10:11], s[10:11], s21, v3, v[2:3]
	v_mov_b32_e32 v2, v9
	v_mad_u64_u32 v[30:31], s[10:11], s21, v30, v[2:3]
	v_lshlrev_b32_e32 v14, 4, v13
	v_mov_b32_e32 v7, v10
	v_mov_b32_e32 v9, v30
	v_lshl_or_b32 v15, v12, 9, v14
	s_lshl_b64 s[12:13], s[20:21], 9
	v_lshlrev_b64 v[2:3], 4, v[4:5]
	v_lshlrev_b64 v[4:5], 4, v[6:7]
	;; [unrolled: 1-line block ×3, first 2 shown]
	v_mov_b32_e32 v8, s14
	v_or_b32_e32 v17, 0x1000, v15
	v_or_b32_e32 v18, 0x2000, v15
	;; [unrolled: 1-line block ×3, first 2 shown]
	s_mov_b64 s[16:17], 0
	v_mov_b32_e32 v30, s13
	v_mov_b32_e32 v9, s15
	s_branch .LBB15_3
.LBB15_2:                               ;   in Loop: Header=BB15_3 Depth=1
	s_or_b64 exec, exec, s[10:11]
	v_add_co_u32_e32 v20, vcc, 0x200, v20
	v_addc_co_u32_e32 v21, vcc, 0, v21, vcc
	v_add_co_u32_e32 v22, vcc, 0x200, v22
	v_addc_co_u32_e32 v23, vcc, 0, v23, vcc
	;; [unrolled: 2-line block ×3, first 2 shown]
	s_add_u32 s16, s16, 32
	v_add_co_u32_e32 v26, vcc, 0x200, v26
	s_addc_u32 s17, s17, 0
	v_addc_co_u32_e32 v27, vcc, 0, v27, vcc
	v_add_co_u32_e32 v28, vcc, 0x200, v28
	v_cmp_lt_i64_e64 s[10:11], s[16:17], v[8:9]
	v_addc_co_u32_e32 v29, vcc, 0, v29, vcc
	s_and_b64 vcc, exec, s[10:11]
	s_cbranch_vccz .LBB15_20
.LBB15_3:                               ; =>This Inner Loop Header: Depth=1
	v_mov_b32_e32 v11, s17
	v_add_co_u32_e32 v10, vcc, s16, v12
	v_addc_co_u32_e32 v11, vcc, 0, v11, vcc
	v_cmp_gt_i64_e32 vcc, s[14:15], v[10:11]
	s_and_b64 s[18:19], s[0:1], vcc
	s_waitcnt vmcnt(0)
	s_barrier
	s_and_saveexec_b64 s[10:11], s[18:19]
	s_cbranch_execz .LBB15_5
; %bb.4:                                ;   in Loop: Header=BB15_3 Depth=1
	v_add_co_u32_e32 v31, vcc, v24, v2
	v_addc_co_u32_e32 v32, vcc, v25, v3, vcc
	global_load_dwordx4 v[31:34], v[31:32], off
	s_waitcnt vmcnt(0)
	ds_write2_b64 v15, v[31:32], v[33:34] offset1:1
.LBB15_5:                               ;   in Loop: Header=BB15_3 Depth=1
	s_or_b64 exec, exec, s[10:11]
	s_and_saveexec_b64 s[10:11], s[0:1]
	s_cbranch_execz .LBB15_12
; %bb.6:                                ;   in Loop: Header=BB15_3 Depth=1
	v_add_co_u32_e32 v31, vcc, 8, v10
	v_addc_co_u32_e32 v32, vcc, 0, v11, vcc
	v_cmp_gt_i64_e32 vcc, s[14:15], v[31:32]
	s_and_saveexec_b64 s[18:19], vcc
	s_cbranch_execz .LBB15_8
; %bb.7:                                ;   in Loop: Header=BB15_3 Depth=1
	v_add_co_u32_e32 v31, vcc, v24, v0
	v_addc_co_u32_e32 v32, vcc, v25, v1, vcc
	global_load_dwordx4 v[31:34], v[31:32], off
	s_waitcnt vmcnt(0)
	ds_write2_b64 v17, v[31:32], v[33:34] offset1:1
.LBB15_8:                               ;   in Loop: Header=BB15_3 Depth=1
	s_or_b64 exec, exec, s[18:19]
	v_add_co_u32_e32 v31, vcc, 16, v10
	v_addc_co_u32_e32 v32, vcc, 0, v11, vcc
	v_cmp_gt_i64_e32 vcc, s[14:15], v[31:32]
	s_and_saveexec_b64 s[18:19], vcc
	s_cbranch_execz .LBB15_10
; %bb.9:                                ;   in Loop: Header=BB15_3 Depth=1
	v_add_co_u32_e32 v31, vcc, v24, v6
	v_addc_co_u32_e32 v32, vcc, v25, v7, vcc
	global_load_dwordx4 v[31:34], v[31:32], off
	s_waitcnt vmcnt(0)
	ds_write2_b64 v18, v[31:32], v[33:34] offset1:1
.LBB15_10:                              ;   in Loop: Header=BB15_3 Depth=1
	s_or_b64 exec, exec, s[18:19]
	v_add_co_u32_e32 v10, vcc, 24, v10
	v_addc_co_u32_e32 v11, vcc, 0, v11, vcc
	v_cmp_gt_i64_e32 vcc, s[14:15], v[10:11]
	s_and_b64 exec, exec, vcc
	s_cbranch_execz .LBB15_12
; %bb.11:                               ;   in Loop: Header=BB15_3 Depth=1
	v_add_co_u32_e32 v10, vcc, v24, v4
	v_addc_co_u32_e32 v11, vcc, v25, v5, vcc
	global_load_dwordx4 v[31:34], v[10:11], off
	s_waitcnt vmcnt(0)
	ds_write2_b64 v19, v[31:32], v[33:34] offset1:1
.LBB15_12:                              ;   in Loop: Header=BB15_3 Depth=1
	s_or_b64 exec, exec, s[10:11]
	v_mov_b32_e32 v11, s17
	v_add_co_u32_e32 v10, vcc, s16, v13
	v_addc_co_u32_e32 v11, vcc, 0, v11, vcc
	v_cmp_le_i64_e32 vcc, s[14:15], v[10:11]
	s_waitcnt lgkmcnt(0)
	s_nor_b64 s[10:11], vcc, s[2:3]
	s_barrier
	s_and_saveexec_b64 s[18:19], s[10:11]
	s_cbranch_execnz .LBB15_16
; %bb.13:                               ;   in Loop: Header=BB15_3 Depth=1
	s_or_b64 exec, exec, s[18:19]
	s_nor_b64 s[10:11], vcc, s[4:5]
	s_and_saveexec_b64 s[18:19], s[10:11]
	s_cbranch_execnz .LBB15_17
.LBB15_14:                              ;   in Loop: Header=BB15_3 Depth=1
	s_or_b64 exec, exec, s[18:19]
	s_nor_b64 s[10:11], vcc, s[6:7]
	s_and_saveexec_b64 s[18:19], s[10:11]
	s_cbranch_execnz .LBB15_18
.LBB15_15:                              ;   in Loop: Header=BB15_3 Depth=1
	s_or_b64 exec, exec, s[18:19]
	s_nor_b64 s[18:19], vcc, s[8:9]
	s_and_saveexec_b64 s[10:11], s[18:19]
	s_cbranch_execz .LBB15_2
	s_branch .LBB15_19
.LBB15_16:                              ;   in Loop: Header=BB15_3 Depth=1
	ds_read_b128 v[31:34], v16
	s_waitcnt lgkmcnt(0)
	v_mul_f64 v[10:11], v[33:34], -s[30:31]
	v_mul_f64 v[35:36], s[28:29], v[33:34]
	v_fma_f64 v[33:34], s[28:29], v[31:32], v[10:11]
	v_fma_f64 v[35:36], s[30:31], v[31:32], v[35:36]
	v_add_co_u32_e64 v10, s[10:11], v20, v14
	v_addc_co_u32_e64 v11, s[10:11], 0, v21, s[10:11]
	global_store_dwordx4 v[10:11], v[33:36], off offset:-8
	s_or_b64 exec, exec, s[18:19]
	s_nor_b64 s[10:11], vcc, s[4:5]
	s_and_saveexec_b64 s[18:19], s[10:11]
	s_cbranch_execz .LBB15_14
.LBB15_17:                              ;   in Loop: Header=BB15_3 Depth=1
	ds_read_b128 v[31:34], v16 offset:128
	s_waitcnt lgkmcnt(0)
	v_mul_f64 v[10:11], v[33:34], -s[30:31]
	v_mul_f64 v[35:36], s[28:29], v[33:34]
	v_fma_f64 v[33:34], s[28:29], v[31:32], v[10:11]
	v_fma_f64 v[35:36], s[30:31], v[31:32], v[35:36]
	v_add_co_u32_e64 v10, s[10:11], v22, v14
	v_addc_co_u32_e64 v11, s[10:11], 0, v23, s[10:11]
	global_store_dwordx4 v[10:11], v[33:36], off offset:-8
	s_or_b64 exec, exec, s[18:19]
	s_nor_b64 s[10:11], vcc, s[6:7]
	s_and_saveexec_b64 s[18:19], s[10:11]
	s_cbranch_execz .LBB15_15
.LBB15_18:                              ;   in Loop: Header=BB15_3 Depth=1
	ds_read_b128 v[31:34], v16 offset:256
	s_waitcnt lgkmcnt(0)
	v_mul_f64 v[10:11], v[33:34], -s[30:31]
	v_mul_f64 v[35:36], s[28:29], v[33:34]
	v_fma_f64 v[33:34], s[28:29], v[31:32], v[10:11]
	v_fma_f64 v[35:36], s[30:31], v[31:32], v[35:36]
	v_add_co_u32_e64 v10, s[10:11], v26, v14
	v_addc_co_u32_e64 v11, s[10:11], 0, v27, s[10:11]
	global_store_dwordx4 v[10:11], v[33:36], off offset:-8
	s_or_b64 exec, exec, s[18:19]
	s_nor_b64 s[18:19], vcc, s[8:9]
	s_and_saveexec_b64 s[10:11], s[18:19]
	s_cbranch_execz .LBB15_2
.LBB15_19:                              ;   in Loop: Header=BB15_3 Depth=1
	ds_read_b128 v[31:34], v16 offset:384
	s_waitcnt lgkmcnt(0)
	v_mul_f64 v[10:11], v[33:34], -s[30:31]
	v_mul_f64 v[35:36], s[28:29], v[33:34]
	v_fma_f64 v[33:34], s[28:29], v[31:32], v[10:11]
	v_fma_f64 v[35:36], s[30:31], v[31:32], v[35:36]
	v_add_co_u32_e32 v10, vcc, v28, v14
	v_addc_co_u32_e32 v11, vcc, 0, v29, vcc
	global_store_dwordx4 v[10:11], v[33:36], off offset:-8
	s_branch .LBB15_2
.LBB15_20:
	s_endpgm
	.section	.rodata,"a",@progbits
	.p2align	6, 0x0
	.amdhsa_kernel _ZN9rocsparseL22dense_transpose_kernelILj32ELj8El21rocsparse_complex_numIdEPKS2_EEvT1_S5_T3_PKT2_lPS7_l
		.amdhsa_group_segment_fixed_size 16384
		.amdhsa_private_segment_fixed_size 0
		.amdhsa_kernarg_size 56
		.amdhsa_user_sgpr_count 6
		.amdhsa_user_sgpr_private_segment_buffer 1
		.amdhsa_user_sgpr_dispatch_ptr 0
		.amdhsa_user_sgpr_queue_ptr 0
		.amdhsa_user_sgpr_kernarg_segment_ptr 1
		.amdhsa_user_sgpr_dispatch_id 0
		.amdhsa_user_sgpr_flat_scratch_init 0
		.amdhsa_user_sgpr_private_segment_size 0
		.amdhsa_uses_dynamic_stack 0
		.amdhsa_system_sgpr_private_segment_wavefront_offset 0
		.amdhsa_system_sgpr_workgroup_id_x 1
		.amdhsa_system_sgpr_workgroup_id_y 0
		.amdhsa_system_sgpr_workgroup_id_z 0
		.amdhsa_system_sgpr_workgroup_info 0
		.amdhsa_system_vgpr_workitem_id 0
		.amdhsa_next_free_vgpr 49
		.amdhsa_next_free_sgpr 98
		.amdhsa_reserve_vcc 1
		.amdhsa_reserve_flat_scratch 0
		.amdhsa_float_round_mode_32 0
		.amdhsa_float_round_mode_16_64 0
		.amdhsa_float_denorm_mode_32 3
		.amdhsa_float_denorm_mode_16_64 3
		.amdhsa_dx10_clamp 1
		.amdhsa_ieee_mode 1
		.amdhsa_fp16_overflow 0
		.amdhsa_exception_fp_ieee_invalid_op 0
		.amdhsa_exception_fp_denorm_src 0
		.amdhsa_exception_fp_ieee_div_zero 0
		.amdhsa_exception_fp_ieee_overflow 0
		.amdhsa_exception_fp_ieee_underflow 0
		.amdhsa_exception_fp_ieee_inexact 0
		.amdhsa_exception_int_div_zero 0
	.end_amdhsa_kernel
	.section	.text._ZN9rocsparseL22dense_transpose_kernelILj32ELj8El21rocsparse_complex_numIdEPKS2_EEvT1_S5_T3_PKT2_lPS7_l,"axG",@progbits,_ZN9rocsparseL22dense_transpose_kernelILj32ELj8El21rocsparse_complex_numIdEPKS2_EEvT1_S5_T3_PKT2_lPS7_l,comdat
.Lfunc_end15:
	.size	_ZN9rocsparseL22dense_transpose_kernelILj32ELj8El21rocsparse_complex_numIdEPKS2_EEvT1_S5_T3_PKT2_lPS7_l, .Lfunc_end15-_ZN9rocsparseL22dense_transpose_kernelILj32ELj8El21rocsparse_complex_numIdEPKS2_EEvT1_S5_T3_PKT2_lPS7_l
                                        ; -- End function
	.set _ZN9rocsparseL22dense_transpose_kernelILj32ELj8El21rocsparse_complex_numIdEPKS2_EEvT1_S5_T3_PKT2_lPS7_l.num_vgpr, 37
	.set _ZN9rocsparseL22dense_transpose_kernelILj32ELj8El21rocsparse_complex_numIdEPKS2_EEvT1_S5_T3_PKT2_lPS7_l.num_agpr, 0
	.set _ZN9rocsparseL22dense_transpose_kernelILj32ELj8El21rocsparse_complex_numIdEPKS2_EEvT1_S5_T3_PKT2_lPS7_l.numbered_sgpr, 32
	.set _ZN9rocsparseL22dense_transpose_kernelILj32ELj8El21rocsparse_complex_numIdEPKS2_EEvT1_S5_T3_PKT2_lPS7_l.num_named_barrier, 0
	.set _ZN9rocsparseL22dense_transpose_kernelILj32ELj8El21rocsparse_complex_numIdEPKS2_EEvT1_S5_T3_PKT2_lPS7_l.private_seg_size, 0
	.set _ZN9rocsparseL22dense_transpose_kernelILj32ELj8El21rocsparse_complex_numIdEPKS2_EEvT1_S5_T3_PKT2_lPS7_l.uses_vcc, 1
	.set _ZN9rocsparseL22dense_transpose_kernelILj32ELj8El21rocsparse_complex_numIdEPKS2_EEvT1_S5_T3_PKT2_lPS7_l.uses_flat_scratch, 0
	.set _ZN9rocsparseL22dense_transpose_kernelILj32ELj8El21rocsparse_complex_numIdEPKS2_EEvT1_S5_T3_PKT2_lPS7_l.has_dyn_sized_stack, 0
	.set _ZN9rocsparseL22dense_transpose_kernelILj32ELj8El21rocsparse_complex_numIdEPKS2_EEvT1_S5_T3_PKT2_lPS7_l.has_recursion, 0
	.set _ZN9rocsparseL22dense_transpose_kernelILj32ELj8El21rocsparse_complex_numIdEPKS2_EEvT1_S5_T3_PKT2_lPS7_l.has_indirect_call, 0
	.section	.AMDGPU.csdata,"",@progbits
; Kernel info:
; codeLenInByte = 1304
; TotalNumSgprs: 36
; NumVgprs: 37
; ScratchSize: 0
; MemoryBound: 0
; FloatMode: 240
; IeeeMode: 1
; LDSByteSize: 16384 bytes/workgroup (compile time only)
; SGPRBlocks: 12
; VGPRBlocks: 12
; NumSGPRsForWavesPerEU: 102
; NumVGPRsForWavesPerEU: 49
; Occupancy: 4
; WaveLimiterHint : 0
; COMPUTE_PGM_RSRC2:SCRATCH_EN: 0
; COMPUTE_PGM_RSRC2:USER_SGPR: 6
; COMPUTE_PGM_RSRC2:TRAP_HANDLER: 0
; COMPUTE_PGM_RSRC2:TGID_X_EN: 1
; COMPUTE_PGM_RSRC2:TGID_Y_EN: 0
; COMPUTE_PGM_RSRC2:TGID_Z_EN: 0
; COMPUTE_PGM_RSRC2:TIDIG_COMP_CNT: 0
	.section	.text._ZN9rocsparseL27dense_transpose_back_kernelILj32ELj8EifEEvT1_S1_PKT2_lPS2_l,"axG",@progbits,_ZN9rocsparseL27dense_transpose_back_kernelILj32ELj8EifEEvT1_S1_PKT2_lPS2_l,comdat
	.globl	_ZN9rocsparseL27dense_transpose_back_kernelILj32ELj8EifEEvT1_S1_PKT2_lPS2_l ; -- Begin function _ZN9rocsparseL27dense_transpose_back_kernelILj32ELj8EifEEvT1_S1_PKT2_lPS2_l
	.p2align	8
	.type	_ZN9rocsparseL27dense_transpose_back_kernelILj32ELj8EifEEvT1_S1_PKT2_lPS2_l,@function
_ZN9rocsparseL27dense_transpose_back_kernelILj32ELj8EifEEvT1_S1_PKT2_lPS2_l: ; @_ZN9rocsparseL27dense_transpose_back_kernelILj32ELj8EifEEvT1_S1_PKT2_lPS2_l
; %bb.0:
	s_load_dwordx2 s[20:21], s[4:5], 0x0
	s_waitcnt lgkmcnt(0)
	s_cmp_lt_i32 s21, 1
	s_cbranch_scc1 .LBB16_20
; %bb.1:
	v_and_b32_e32 v8, 31, v0
	s_load_dwordx8 s[12:19], s[4:5], 0x8
	v_lshrrev_b32_e32 v9, 5, v0
	s_lshl_b32 s0, s6, 5
	v_lshlrev_b32_e32 v1, 2, v8
	v_or_b32_e32 v0, s0, v8
	v_lshl_or_b32 v10, v9, 7, v1
	v_lshlrev_b32_e32 v1, 2, v9
	v_lshl_or_b32 v11, v8, 7, v1
	v_ashrrev_i32_e32 v1, 31, v0
	v_cmp_gt_i32_e32 vcc, s20, v0
	v_lshlrev_b64 v[0:1], 2, v[0:1]
	v_or_b32_e32 v7, s0, v9
	s_waitcnt lgkmcnt(0)
	v_mov_b32_e32 v2, s17
	v_add_co_u32_e64 v12, s[0:1], s16, v0
	v_or_b32_e32 v14, 8, v7
	v_addc_co_u32_e64 v13, s[0:1], v2, v1, s[0:1]
	v_mad_u64_u32 v[0:1], s[0:1], s14, v7, 0
	v_mad_u64_u32 v[2:3], s[0:1], s14, v14, 0
	v_or_b32_e32 v17, 16, v7
	v_or_b32_e32 v18, 24, v7
	v_mad_u64_u32 v[4:5], s[0:1], s15, v7, v[1:2]
	v_mov_b32_e32 v1, v3
	v_mad_u64_u32 v[5:6], s[0:1], s15, v14, v[1:2]
	v_cmp_le_u32_e64 s[0:1], s20, v7
	v_mov_b32_e32 v1, v4
	v_mov_b32_e32 v3, v5
	v_mad_u64_u32 v[4:5], s[4:5], s14, v17, 0
	v_mad_u64_u32 v[6:7], s[4:5], s14, v18, 0
	v_cmp_le_u32_e64 s[2:3], s20, v14
	v_lshlrev_b64 v[0:1], 2, v[0:1]
	v_mad_u64_u32 v[14:15], s[4:5], s15, v17, v[5:6]
	v_mov_b32_e32 v5, v7
	v_mad_u64_u32 v[15:16], s[4:5], s15, v18, v[5:6]
	v_mov_b32_e32 v5, v14
	v_lshlrev_b64 v[2:3], 2, v[2:3]
	v_mov_b32_e32 v7, v15
	v_lshlrev_b64 v[4:5], 2, v[4:5]
	v_lshlrev_b64 v[6:7], 2, v[6:7]
	v_cmp_le_u32_e64 s[4:5], s20, v17
	v_cmp_le_u32_e64 s[6:7], s20, v18
	s_mov_b32 s16, 0
	v_mov_b32_e32 v14, s13
	s_branch .LBB16_3
.LBB16_2:                               ;   in Loop: Header=BB16_3 Depth=1
	s_or_b64 exec, exec, s[10:11]
	s_add_i32 s16, s16, 32
	s_cmp_lt_i32 s16, s21
	s_cbranch_scc0 .LBB16_20
.LBB16_3:                               ; =>This Inner Loop Header: Depth=1
	v_add_u32_e32 v15, s16, v8
	v_ashrrev_i32_e32 v16, 31, v15
	v_cmp_le_i32_e64 s[8:9], s21, v15
	v_lshlrev_b64 v[15:16], 2, v[15:16]
	v_add_co_u32_e64 v15, s[10:11], s12, v15
	v_addc_co_u32_e64 v16, s[10:11], v14, v16, s[10:11]
	s_nor_b64 s[10:11], s[8:9], s[0:1]
	s_waitcnt vmcnt(0)
	s_barrier
	s_and_saveexec_b64 s[14:15], s[10:11]
	s_cbranch_execnz .LBB16_17
; %bb.4:                                ;   in Loop: Header=BB16_3 Depth=1
	s_or_b64 exec, exec, s[14:15]
	s_nor_b64 s[10:11], s[8:9], s[2:3]
	s_and_saveexec_b64 s[14:15], s[10:11]
	s_cbranch_execnz .LBB16_18
.LBB16_5:                               ;   in Loop: Header=BB16_3 Depth=1
	s_or_b64 exec, exec, s[14:15]
	s_nor_b64 s[10:11], s[8:9], s[4:5]
	s_and_saveexec_b64 s[14:15], s[10:11]
	s_cbranch_execnz .LBB16_19
.LBB16_6:                               ;   in Loop: Header=BB16_3 Depth=1
	s_or_b64 exec, exec, s[14:15]
	s_nor_b64 s[8:9], s[8:9], s[6:7]
	s_and_saveexec_b64 s[10:11], s[8:9]
	s_cbranch_execz .LBB16_8
.LBB16_7:                               ;   in Loop: Header=BB16_3 Depth=1
	v_add_co_u32_e64 v15, s[8:9], v15, v6
	v_addc_co_u32_e64 v16, s[8:9], v16, v7, s[8:9]
	global_load_dword v15, v[15:16], off
	s_waitcnt vmcnt(0)
	ds_write_b32 v10, v15 offset:3072
.LBB16_8:                               ;   in Loop: Header=BB16_3 Depth=1
	s_or_b64 exec, exec, s[10:11]
	v_add_u32_e32 v15, s16, v9
	v_cmp_gt_u32_e64 s[8:9], s21, v15
	s_and_b64 s[8:9], vcc, s[8:9]
	s_waitcnt lgkmcnt(0)
	s_barrier
	s_and_saveexec_b64 s[10:11], s[8:9]
	s_cbranch_execz .LBB16_10
; %bb.9:                                ;   in Loop: Header=BB16_3 Depth=1
	v_mad_u64_u32 v[16:17], s[8:9], s18, v15, 0
	v_mad_u64_u32 v[17:18], s[8:9], s19, v15, v[17:18]
	ds_read_b32 v18, v11
	v_lshlrev_b64 v[16:17], 2, v[16:17]
	v_add_co_u32_e64 v16, s[8:9], v12, v16
	v_addc_co_u32_e64 v17, s[8:9], v13, v17, s[8:9]
	s_waitcnt lgkmcnt(0)
	global_store_dword v[16:17], v18, off
.LBB16_10:                              ;   in Loop: Header=BB16_3 Depth=1
	s_or_b64 exec, exec, s[10:11]
	s_and_saveexec_b64 s[10:11], vcc
	s_cbranch_execz .LBB16_2
; %bb.11:                               ;   in Loop: Header=BB16_3 Depth=1
	v_add_u32_e32 v16, 8, v15
	v_cmp_gt_u32_e64 s[8:9], s21, v16
	s_and_saveexec_b64 s[14:15], s[8:9]
	s_cbranch_execz .LBB16_13
; %bb.12:                               ;   in Loop: Header=BB16_3 Depth=1
	v_mad_u64_u32 v[17:18], s[8:9], s18, v16, 0
	v_mad_u64_u32 v[18:19], s[8:9], s19, v16, v[18:19]
	ds_read_b32 v19, v11 offset:32
	v_lshlrev_b64 v[16:17], 2, v[17:18]
	v_add_co_u32_e64 v16, s[8:9], v12, v16
	v_addc_co_u32_e64 v17, s[8:9], v13, v17, s[8:9]
	s_waitcnt lgkmcnt(0)
	global_store_dword v[16:17], v19, off
.LBB16_13:                              ;   in Loop: Header=BB16_3 Depth=1
	s_or_b64 exec, exec, s[14:15]
	v_add_u32_e32 v16, 16, v15
	v_cmp_gt_u32_e64 s[8:9], s21, v16
	s_and_saveexec_b64 s[14:15], s[8:9]
	s_cbranch_execz .LBB16_15
; %bb.14:                               ;   in Loop: Header=BB16_3 Depth=1
	v_mad_u64_u32 v[17:18], s[8:9], s18, v16, 0
	v_mad_u64_u32 v[18:19], s[8:9], s19, v16, v[18:19]
	ds_read_b32 v19, v11 offset:64
	v_lshlrev_b64 v[16:17], 2, v[17:18]
	v_add_co_u32_e64 v16, s[8:9], v12, v16
	v_addc_co_u32_e64 v17, s[8:9], v13, v17, s[8:9]
	s_waitcnt lgkmcnt(0)
	global_store_dword v[16:17], v19, off
.LBB16_15:                              ;   in Loop: Header=BB16_3 Depth=1
	s_or_b64 exec, exec, s[14:15]
	v_add_u32_e32 v15, 24, v15
	v_cmp_gt_u32_e64 s[8:9], s21, v15
	s_and_b64 exec, exec, s[8:9]
	s_cbranch_execz .LBB16_2
; %bb.16:                               ;   in Loop: Header=BB16_3 Depth=1
	v_mad_u64_u32 v[16:17], s[8:9], s18, v15, 0
	v_mad_u64_u32 v[17:18], s[8:9], s19, v15, v[17:18]
	ds_read_b32 v18, v11 offset:96
	v_lshlrev_b64 v[15:16], 2, v[16:17]
	v_add_co_u32_e64 v15, s[8:9], v12, v15
	v_addc_co_u32_e64 v16, s[8:9], v13, v16, s[8:9]
	s_waitcnt lgkmcnt(0)
	global_store_dword v[15:16], v18, off
	s_branch .LBB16_2
.LBB16_17:                              ;   in Loop: Header=BB16_3 Depth=1
	v_add_co_u32_e64 v17, s[10:11], v15, v0
	v_addc_co_u32_e64 v18, s[10:11], v16, v1, s[10:11]
	global_load_dword v17, v[17:18], off
	s_waitcnt vmcnt(0)
	ds_write_b32 v10, v17
	s_or_b64 exec, exec, s[14:15]
	s_nor_b64 s[10:11], s[8:9], s[2:3]
	s_and_saveexec_b64 s[14:15], s[10:11]
	s_cbranch_execz .LBB16_5
.LBB16_18:                              ;   in Loop: Header=BB16_3 Depth=1
	v_add_co_u32_e64 v17, s[10:11], v15, v2
	v_addc_co_u32_e64 v18, s[10:11], v16, v3, s[10:11]
	global_load_dword v17, v[17:18], off
	s_waitcnt vmcnt(0)
	ds_write_b32 v10, v17 offset:1024
	s_or_b64 exec, exec, s[14:15]
	s_nor_b64 s[10:11], s[8:9], s[4:5]
	s_and_saveexec_b64 s[14:15], s[10:11]
	s_cbranch_execz .LBB16_6
.LBB16_19:                              ;   in Loop: Header=BB16_3 Depth=1
	v_add_co_u32_e64 v17, s[10:11], v15, v4
	v_addc_co_u32_e64 v18, s[10:11], v16, v5, s[10:11]
	global_load_dword v17, v[17:18], off
	s_waitcnt vmcnt(0)
	ds_write_b32 v10, v17 offset:2048
	s_or_b64 exec, exec, s[14:15]
	s_nor_b64 s[8:9], s[8:9], s[6:7]
	s_and_saveexec_b64 s[10:11], s[8:9]
	s_cbranch_execnz .LBB16_7
	s_branch .LBB16_8
.LBB16_20:
	s_endpgm
	.section	.rodata,"a",@progbits
	.p2align	6, 0x0
	.amdhsa_kernel _ZN9rocsparseL27dense_transpose_back_kernelILj32ELj8EifEEvT1_S1_PKT2_lPS2_l
		.amdhsa_group_segment_fixed_size 4096
		.amdhsa_private_segment_fixed_size 0
		.amdhsa_kernarg_size 40
		.amdhsa_user_sgpr_count 6
		.amdhsa_user_sgpr_private_segment_buffer 1
		.amdhsa_user_sgpr_dispatch_ptr 0
		.amdhsa_user_sgpr_queue_ptr 0
		.amdhsa_user_sgpr_kernarg_segment_ptr 1
		.amdhsa_user_sgpr_dispatch_id 0
		.amdhsa_user_sgpr_flat_scratch_init 0
		.amdhsa_user_sgpr_private_segment_size 0
		.amdhsa_uses_dynamic_stack 0
		.amdhsa_system_sgpr_private_segment_wavefront_offset 0
		.amdhsa_system_sgpr_workgroup_id_x 1
		.amdhsa_system_sgpr_workgroup_id_y 0
		.amdhsa_system_sgpr_workgroup_id_z 0
		.amdhsa_system_sgpr_workgroup_info 0
		.amdhsa_system_vgpr_workitem_id 0
		.amdhsa_next_free_vgpr 20
		.amdhsa_next_free_sgpr 22
		.amdhsa_reserve_vcc 1
		.amdhsa_reserve_flat_scratch 0
		.amdhsa_float_round_mode_32 0
		.amdhsa_float_round_mode_16_64 0
		.amdhsa_float_denorm_mode_32 3
		.amdhsa_float_denorm_mode_16_64 3
		.amdhsa_dx10_clamp 1
		.amdhsa_ieee_mode 1
		.amdhsa_fp16_overflow 0
		.amdhsa_exception_fp_ieee_invalid_op 0
		.amdhsa_exception_fp_denorm_src 0
		.amdhsa_exception_fp_ieee_div_zero 0
		.amdhsa_exception_fp_ieee_overflow 0
		.amdhsa_exception_fp_ieee_underflow 0
		.amdhsa_exception_fp_ieee_inexact 0
		.amdhsa_exception_int_div_zero 0
	.end_amdhsa_kernel
	.section	.text._ZN9rocsparseL27dense_transpose_back_kernelILj32ELj8EifEEvT1_S1_PKT2_lPS2_l,"axG",@progbits,_ZN9rocsparseL27dense_transpose_back_kernelILj32ELj8EifEEvT1_S1_PKT2_lPS2_l,comdat
.Lfunc_end16:
	.size	_ZN9rocsparseL27dense_transpose_back_kernelILj32ELj8EifEEvT1_S1_PKT2_lPS2_l, .Lfunc_end16-_ZN9rocsparseL27dense_transpose_back_kernelILj32ELj8EifEEvT1_S1_PKT2_lPS2_l
                                        ; -- End function
	.set _ZN9rocsparseL27dense_transpose_back_kernelILj32ELj8EifEEvT1_S1_PKT2_lPS2_l.num_vgpr, 20
	.set _ZN9rocsparseL27dense_transpose_back_kernelILj32ELj8EifEEvT1_S1_PKT2_lPS2_l.num_agpr, 0
	.set _ZN9rocsparseL27dense_transpose_back_kernelILj32ELj8EifEEvT1_S1_PKT2_lPS2_l.numbered_sgpr, 22
	.set _ZN9rocsparseL27dense_transpose_back_kernelILj32ELj8EifEEvT1_S1_PKT2_lPS2_l.num_named_barrier, 0
	.set _ZN9rocsparseL27dense_transpose_back_kernelILj32ELj8EifEEvT1_S1_PKT2_lPS2_l.private_seg_size, 0
	.set _ZN9rocsparseL27dense_transpose_back_kernelILj32ELj8EifEEvT1_S1_PKT2_lPS2_l.uses_vcc, 1
	.set _ZN9rocsparseL27dense_transpose_back_kernelILj32ELj8EifEEvT1_S1_PKT2_lPS2_l.uses_flat_scratch, 0
	.set _ZN9rocsparseL27dense_transpose_back_kernelILj32ELj8EifEEvT1_S1_PKT2_lPS2_l.has_dyn_sized_stack, 0
	.set _ZN9rocsparseL27dense_transpose_back_kernelILj32ELj8EifEEvT1_S1_PKT2_lPS2_l.has_recursion, 0
	.set _ZN9rocsparseL27dense_transpose_back_kernelILj32ELj8EifEEvT1_S1_PKT2_lPS2_l.has_indirect_call, 0
	.section	.AMDGPU.csdata,"",@progbits
; Kernel info:
; codeLenInByte = 972
; TotalNumSgprs: 26
; NumVgprs: 20
; ScratchSize: 0
; MemoryBound: 0
; FloatMode: 240
; IeeeMode: 1
; LDSByteSize: 4096 bytes/workgroup (compile time only)
; SGPRBlocks: 3
; VGPRBlocks: 4
; NumSGPRsForWavesPerEU: 26
; NumVGPRsForWavesPerEU: 20
; Occupancy: 10
; WaveLimiterHint : 0
; COMPUTE_PGM_RSRC2:SCRATCH_EN: 0
; COMPUTE_PGM_RSRC2:USER_SGPR: 6
; COMPUTE_PGM_RSRC2:TRAP_HANDLER: 0
; COMPUTE_PGM_RSRC2:TGID_X_EN: 1
; COMPUTE_PGM_RSRC2:TGID_Y_EN: 0
; COMPUTE_PGM_RSRC2:TGID_Z_EN: 0
; COMPUTE_PGM_RSRC2:TIDIG_COMP_CNT: 0
	.section	.text._ZN9rocsparseL27dense_transpose_back_kernelILj32ELj8EidEEvT1_S1_PKT2_lPS2_l,"axG",@progbits,_ZN9rocsparseL27dense_transpose_back_kernelILj32ELj8EidEEvT1_S1_PKT2_lPS2_l,comdat
	.globl	_ZN9rocsparseL27dense_transpose_back_kernelILj32ELj8EidEEvT1_S1_PKT2_lPS2_l ; -- Begin function _ZN9rocsparseL27dense_transpose_back_kernelILj32ELj8EidEEvT1_S1_PKT2_lPS2_l
	.p2align	8
	.type	_ZN9rocsparseL27dense_transpose_back_kernelILj32ELj8EidEEvT1_S1_PKT2_lPS2_l,@function
_ZN9rocsparseL27dense_transpose_back_kernelILj32ELj8EidEEvT1_S1_PKT2_lPS2_l: ; @_ZN9rocsparseL27dense_transpose_back_kernelILj32ELj8EidEEvT1_S1_PKT2_lPS2_l
; %bb.0:
	s_load_dwordx2 s[20:21], s[4:5], 0x0
	s_waitcnt lgkmcnt(0)
	s_cmp_lt_i32 s21, 1
	s_cbranch_scc1 .LBB17_20
; %bb.1:
	v_and_b32_e32 v8, 31, v0
	s_load_dwordx8 s[12:19], s[4:5], 0x8
	v_lshrrev_b32_e32 v9, 5, v0
	s_lshl_b32 s0, s6, 5
	v_lshlrev_b32_e32 v1, 3, v8
	v_or_b32_e32 v0, s0, v8
	v_lshl_or_b32 v10, v9, 8, v1
	v_lshlrev_b32_e32 v1, 3, v9
	v_lshl_or_b32 v11, v8, 8, v1
	v_ashrrev_i32_e32 v1, 31, v0
	v_cmp_gt_i32_e32 vcc, s20, v0
	v_lshlrev_b64 v[0:1], 3, v[0:1]
	v_or_b32_e32 v7, s0, v9
	s_waitcnt lgkmcnt(0)
	v_mov_b32_e32 v2, s17
	v_add_co_u32_e64 v12, s[0:1], s16, v0
	v_or_b32_e32 v14, 8, v7
	v_addc_co_u32_e64 v13, s[0:1], v2, v1, s[0:1]
	v_mad_u64_u32 v[0:1], s[0:1], s14, v7, 0
	v_mad_u64_u32 v[2:3], s[0:1], s14, v14, 0
	v_or_b32_e32 v17, 16, v7
	v_or_b32_e32 v18, 24, v7
	v_mad_u64_u32 v[4:5], s[0:1], s15, v7, v[1:2]
	v_mov_b32_e32 v1, v3
	v_mad_u64_u32 v[5:6], s[0:1], s15, v14, v[1:2]
	v_cmp_le_u32_e64 s[0:1], s20, v7
	v_mov_b32_e32 v1, v4
	v_mov_b32_e32 v3, v5
	v_mad_u64_u32 v[4:5], s[4:5], s14, v17, 0
	v_mad_u64_u32 v[6:7], s[4:5], s14, v18, 0
	v_cmp_le_u32_e64 s[2:3], s20, v14
	v_lshlrev_b64 v[0:1], 3, v[0:1]
	v_mad_u64_u32 v[14:15], s[4:5], s15, v17, v[5:6]
	v_mov_b32_e32 v5, v7
	v_mad_u64_u32 v[15:16], s[4:5], s15, v18, v[5:6]
	v_mov_b32_e32 v5, v14
	v_lshlrev_b64 v[2:3], 3, v[2:3]
	v_mov_b32_e32 v7, v15
	v_lshlrev_b64 v[4:5], 3, v[4:5]
	v_lshlrev_b64 v[6:7], 3, v[6:7]
	v_cmp_le_u32_e64 s[4:5], s20, v17
	v_cmp_le_u32_e64 s[6:7], s20, v18
	s_mov_b32 s16, 0
	v_mov_b32_e32 v14, s13
	s_branch .LBB17_3
.LBB17_2:                               ;   in Loop: Header=BB17_3 Depth=1
	s_or_b64 exec, exec, s[10:11]
	s_add_i32 s16, s16, 32
	s_cmp_lt_i32 s16, s21
	s_cbranch_scc0 .LBB17_20
.LBB17_3:                               ; =>This Inner Loop Header: Depth=1
	v_add_u32_e32 v15, s16, v8
	v_ashrrev_i32_e32 v16, 31, v15
	v_cmp_le_i32_e64 s[8:9], s21, v15
	v_lshlrev_b64 v[15:16], 3, v[15:16]
	v_add_co_u32_e64 v15, s[10:11], s12, v15
	v_addc_co_u32_e64 v16, s[10:11], v14, v16, s[10:11]
	s_nor_b64 s[10:11], s[8:9], s[0:1]
	s_waitcnt vmcnt(0)
	s_barrier
	s_and_saveexec_b64 s[14:15], s[10:11]
	s_cbranch_execnz .LBB17_17
; %bb.4:                                ;   in Loop: Header=BB17_3 Depth=1
	s_or_b64 exec, exec, s[14:15]
	s_nor_b64 s[10:11], s[8:9], s[2:3]
	s_and_saveexec_b64 s[14:15], s[10:11]
	s_cbranch_execnz .LBB17_18
.LBB17_5:                               ;   in Loop: Header=BB17_3 Depth=1
	s_or_b64 exec, exec, s[14:15]
	s_nor_b64 s[10:11], s[8:9], s[4:5]
	s_and_saveexec_b64 s[14:15], s[10:11]
	s_cbranch_execnz .LBB17_19
.LBB17_6:                               ;   in Loop: Header=BB17_3 Depth=1
	s_or_b64 exec, exec, s[14:15]
	s_nor_b64 s[8:9], s[8:9], s[6:7]
	s_and_saveexec_b64 s[10:11], s[8:9]
	s_cbranch_execz .LBB17_8
.LBB17_7:                               ;   in Loop: Header=BB17_3 Depth=1
	v_add_co_u32_e64 v15, s[8:9], v15, v6
	v_addc_co_u32_e64 v16, s[8:9], v16, v7, s[8:9]
	global_load_dwordx2 v[15:16], v[15:16], off
	s_waitcnt vmcnt(0)
	ds_write_b64 v10, v[15:16] offset:6144
.LBB17_8:                               ;   in Loop: Header=BB17_3 Depth=1
	s_or_b64 exec, exec, s[10:11]
	v_add_u32_e32 v15, s16, v9
	v_cmp_gt_u32_e64 s[8:9], s21, v15
	s_and_b64 s[8:9], vcc, s[8:9]
	s_waitcnt lgkmcnt(0)
	s_barrier
	s_and_saveexec_b64 s[10:11], s[8:9]
	s_cbranch_execz .LBB17_10
; %bb.9:                                ;   in Loop: Header=BB17_3 Depth=1
	v_mad_u64_u32 v[16:17], s[8:9], s18, v15, 0
	v_mad_u64_u32 v[17:18], s[8:9], s19, v15, v[17:18]
	ds_read_b64 v[18:19], v11
	v_lshlrev_b64 v[16:17], 3, v[16:17]
	v_add_co_u32_e64 v16, s[8:9], v12, v16
	v_addc_co_u32_e64 v17, s[8:9], v13, v17, s[8:9]
	s_waitcnt lgkmcnt(0)
	global_store_dwordx2 v[16:17], v[18:19], off
.LBB17_10:                              ;   in Loop: Header=BB17_3 Depth=1
	s_or_b64 exec, exec, s[10:11]
	s_and_saveexec_b64 s[10:11], vcc
	s_cbranch_execz .LBB17_2
; %bb.11:                               ;   in Loop: Header=BB17_3 Depth=1
	v_add_u32_e32 v16, 8, v15
	v_cmp_gt_u32_e64 s[8:9], s21, v16
	s_and_saveexec_b64 s[14:15], s[8:9]
	s_cbranch_execz .LBB17_13
; %bb.12:                               ;   in Loop: Header=BB17_3 Depth=1
	v_mad_u64_u32 v[17:18], s[8:9], s18, v16, 0
	v_mad_u64_u32 v[18:19], s[8:9], s19, v16, v[18:19]
	ds_read_b64 v[19:20], v11 offset:64
	v_lshlrev_b64 v[16:17], 3, v[17:18]
	v_add_co_u32_e64 v16, s[8:9], v12, v16
	v_addc_co_u32_e64 v17, s[8:9], v13, v17, s[8:9]
	s_waitcnt lgkmcnt(0)
	global_store_dwordx2 v[16:17], v[19:20], off
.LBB17_13:                              ;   in Loop: Header=BB17_3 Depth=1
	s_or_b64 exec, exec, s[14:15]
	v_add_u32_e32 v16, 16, v15
	v_cmp_gt_u32_e64 s[8:9], s21, v16
	s_and_saveexec_b64 s[14:15], s[8:9]
	s_cbranch_execz .LBB17_15
; %bb.14:                               ;   in Loop: Header=BB17_3 Depth=1
	v_mad_u64_u32 v[17:18], s[8:9], s18, v16, 0
	v_mad_u64_u32 v[18:19], s[8:9], s19, v16, v[18:19]
	ds_read_b64 v[19:20], v11 offset:128
	v_lshlrev_b64 v[16:17], 3, v[17:18]
	v_add_co_u32_e64 v16, s[8:9], v12, v16
	v_addc_co_u32_e64 v17, s[8:9], v13, v17, s[8:9]
	s_waitcnt lgkmcnt(0)
	global_store_dwordx2 v[16:17], v[19:20], off
.LBB17_15:                              ;   in Loop: Header=BB17_3 Depth=1
	s_or_b64 exec, exec, s[14:15]
	v_add_u32_e32 v15, 24, v15
	v_cmp_gt_u32_e64 s[8:9], s21, v15
	s_and_b64 exec, exec, s[8:9]
	s_cbranch_execz .LBB17_2
; %bb.16:                               ;   in Loop: Header=BB17_3 Depth=1
	v_mad_u64_u32 v[16:17], s[8:9], s18, v15, 0
	v_mad_u64_u32 v[17:18], s[8:9], s19, v15, v[17:18]
	ds_read_b64 v[18:19], v11 offset:192
	v_lshlrev_b64 v[15:16], 3, v[16:17]
	v_add_co_u32_e64 v15, s[8:9], v12, v15
	v_addc_co_u32_e64 v16, s[8:9], v13, v16, s[8:9]
	s_waitcnt lgkmcnt(0)
	global_store_dwordx2 v[15:16], v[18:19], off
	s_branch .LBB17_2
.LBB17_17:                              ;   in Loop: Header=BB17_3 Depth=1
	v_add_co_u32_e64 v17, s[10:11], v15, v0
	v_addc_co_u32_e64 v18, s[10:11], v16, v1, s[10:11]
	global_load_dwordx2 v[17:18], v[17:18], off
	s_waitcnt vmcnt(0)
	ds_write_b64 v10, v[17:18]
	s_or_b64 exec, exec, s[14:15]
	s_nor_b64 s[10:11], s[8:9], s[2:3]
	s_and_saveexec_b64 s[14:15], s[10:11]
	s_cbranch_execz .LBB17_5
.LBB17_18:                              ;   in Loop: Header=BB17_3 Depth=1
	v_add_co_u32_e64 v17, s[10:11], v15, v2
	v_addc_co_u32_e64 v18, s[10:11], v16, v3, s[10:11]
	global_load_dwordx2 v[17:18], v[17:18], off
	s_waitcnt vmcnt(0)
	ds_write_b64 v10, v[17:18] offset:2048
	s_or_b64 exec, exec, s[14:15]
	s_nor_b64 s[10:11], s[8:9], s[4:5]
	s_and_saveexec_b64 s[14:15], s[10:11]
	s_cbranch_execz .LBB17_6
.LBB17_19:                              ;   in Loop: Header=BB17_3 Depth=1
	v_add_co_u32_e64 v17, s[10:11], v15, v4
	v_addc_co_u32_e64 v18, s[10:11], v16, v5, s[10:11]
	global_load_dwordx2 v[17:18], v[17:18], off
	s_waitcnt vmcnt(0)
	ds_write_b64 v10, v[17:18] offset:4096
	s_or_b64 exec, exec, s[14:15]
	s_nor_b64 s[8:9], s[8:9], s[6:7]
	s_and_saveexec_b64 s[10:11], s[8:9]
	s_cbranch_execnz .LBB17_7
	s_branch .LBB17_8
.LBB17_20:
	s_endpgm
	.section	.rodata,"a",@progbits
	.p2align	6, 0x0
	.amdhsa_kernel _ZN9rocsparseL27dense_transpose_back_kernelILj32ELj8EidEEvT1_S1_PKT2_lPS2_l
		.amdhsa_group_segment_fixed_size 8192
		.amdhsa_private_segment_fixed_size 0
		.amdhsa_kernarg_size 40
		.amdhsa_user_sgpr_count 6
		.amdhsa_user_sgpr_private_segment_buffer 1
		.amdhsa_user_sgpr_dispatch_ptr 0
		.amdhsa_user_sgpr_queue_ptr 0
		.amdhsa_user_sgpr_kernarg_segment_ptr 1
		.amdhsa_user_sgpr_dispatch_id 0
		.amdhsa_user_sgpr_flat_scratch_init 0
		.amdhsa_user_sgpr_private_segment_size 0
		.amdhsa_uses_dynamic_stack 0
		.amdhsa_system_sgpr_private_segment_wavefront_offset 0
		.amdhsa_system_sgpr_workgroup_id_x 1
		.amdhsa_system_sgpr_workgroup_id_y 0
		.amdhsa_system_sgpr_workgroup_id_z 0
		.amdhsa_system_sgpr_workgroup_info 0
		.amdhsa_system_vgpr_workitem_id 0
		.amdhsa_next_free_vgpr 29
		.amdhsa_next_free_sgpr 61
		.amdhsa_reserve_vcc 1
		.amdhsa_reserve_flat_scratch 0
		.amdhsa_float_round_mode_32 0
		.amdhsa_float_round_mode_16_64 0
		.amdhsa_float_denorm_mode_32 3
		.amdhsa_float_denorm_mode_16_64 3
		.amdhsa_dx10_clamp 1
		.amdhsa_ieee_mode 1
		.amdhsa_fp16_overflow 0
		.amdhsa_exception_fp_ieee_invalid_op 0
		.amdhsa_exception_fp_denorm_src 0
		.amdhsa_exception_fp_ieee_div_zero 0
		.amdhsa_exception_fp_ieee_overflow 0
		.amdhsa_exception_fp_ieee_underflow 0
		.amdhsa_exception_fp_ieee_inexact 0
		.amdhsa_exception_int_div_zero 0
	.end_amdhsa_kernel
	.section	.text._ZN9rocsparseL27dense_transpose_back_kernelILj32ELj8EidEEvT1_S1_PKT2_lPS2_l,"axG",@progbits,_ZN9rocsparseL27dense_transpose_back_kernelILj32ELj8EidEEvT1_S1_PKT2_lPS2_l,comdat
.Lfunc_end17:
	.size	_ZN9rocsparseL27dense_transpose_back_kernelILj32ELj8EidEEvT1_S1_PKT2_lPS2_l, .Lfunc_end17-_ZN9rocsparseL27dense_transpose_back_kernelILj32ELj8EidEEvT1_S1_PKT2_lPS2_l
                                        ; -- End function
	.set _ZN9rocsparseL27dense_transpose_back_kernelILj32ELj8EidEEvT1_S1_PKT2_lPS2_l.num_vgpr, 21
	.set _ZN9rocsparseL27dense_transpose_back_kernelILj32ELj8EidEEvT1_S1_PKT2_lPS2_l.num_agpr, 0
	.set _ZN9rocsparseL27dense_transpose_back_kernelILj32ELj8EidEEvT1_S1_PKT2_lPS2_l.numbered_sgpr, 22
	.set _ZN9rocsparseL27dense_transpose_back_kernelILj32ELj8EidEEvT1_S1_PKT2_lPS2_l.num_named_barrier, 0
	.set _ZN9rocsparseL27dense_transpose_back_kernelILj32ELj8EidEEvT1_S1_PKT2_lPS2_l.private_seg_size, 0
	.set _ZN9rocsparseL27dense_transpose_back_kernelILj32ELj8EidEEvT1_S1_PKT2_lPS2_l.uses_vcc, 1
	.set _ZN9rocsparseL27dense_transpose_back_kernelILj32ELj8EidEEvT1_S1_PKT2_lPS2_l.uses_flat_scratch, 0
	.set _ZN9rocsparseL27dense_transpose_back_kernelILj32ELj8EidEEvT1_S1_PKT2_lPS2_l.has_dyn_sized_stack, 0
	.set _ZN9rocsparseL27dense_transpose_back_kernelILj32ELj8EidEEvT1_S1_PKT2_lPS2_l.has_recursion, 0
	.set _ZN9rocsparseL27dense_transpose_back_kernelILj32ELj8EidEEvT1_S1_PKT2_lPS2_l.has_indirect_call, 0
	.section	.AMDGPU.csdata,"",@progbits
; Kernel info:
; codeLenInByte = 972
; TotalNumSgprs: 26
; NumVgprs: 21
; ScratchSize: 0
; MemoryBound: 0
; FloatMode: 240
; IeeeMode: 1
; LDSByteSize: 8192 bytes/workgroup (compile time only)
; SGPRBlocks: 8
; VGPRBlocks: 7
; NumSGPRsForWavesPerEU: 65
; NumVGPRsForWavesPerEU: 29
; Occupancy: 8
; WaveLimiterHint : 0
; COMPUTE_PGM_RSRC2:SCRATCH_EN: 0
; COMPUTE_PGM_RSRC2:USER_SGPR: 6
; COMPUTE_PGM_RSRC2:TRAP_HANDLER: 0
; COMPUTE_PGM_RSRC2:TGID_X_EN: 1
; COMPUTE_PGM_RSRC2:TGID_Y_EN: 0
; COMPUTE_PGM_RSRC2:TGID_Z_EN: 0
; COMPUTE_PGM_RSRC2:TIDIG_COMP_CNT: 0
	.section	.text._ZN9rocsparseL27dense_transpose_back_kernelILj32ELj8Ei21rocsparse_complex_numIfEEEvT1_S3_PKT2_lPS4_l,"axG",@progbits,_ZN9rocsparseL27dense_transpose_back_kernelILj32ELj8Ei21rocsparse_complex_numIfEEEvT1_S3_PKT2_lPS4_l,comdat
	.globl	_ZN9rocsparseL27dense_transpose_back_kernelILj32ELj8Ei21rocsparse_complex_numIfEEEvT1_S3_PKT2_lPS4_l ; -- Begin function _ZN9rocsparseL27dense_transpose_back_kernelILj32ELj8Ei21rocsparse_complex_numIfEEEvT1_S3_PKT2_lPS4_l
	.p2align	8
	.type	_ZN9rocsparseL27dense_transpose_back_kernelILj32ELj8Ei21rocsparse_complex_numIfEEEvT1_S3_PKT2_lPS4_l,@function
_ZN9rocsparseL27dense_transpose_back_kernelILj32ELj8Ei21rocsparse_complex_numIfEEEvT1_S3_PKT2_lPS4_l: ; @_ZN9rocsparseL27dense_transpose_back_kernelILj32ELj8Ei21rocsparse_complex_numIfEEEvT1_S3_PKT2_lPS4_l
; %bb.0:
	s_load_dwordx2 s[20:21], s[4:5], 0x0
	s_waitcnt lgkmcnt(0)
	s_cmp_lt_i32 s21, 1
	s_cbranch_scc1 .LBB18_20
; %bb.1:
	v_and_b32_e32 v8, 31, v0
	s_load_dwordx8 s[12:19], s[4:5], 0x8
	v_lshrrev_b32_e32 v9, 5, v0
	s_lshl_b32 s0, s6, 5
	v_lshlrev_b32_e32 v1, 3, v8
	v_or_b32_e32 v0, s0, v8
	v_lshl_or_b32 v10, v9, 8, v1
	v_lshlrev_b32_e32 v1, 3, v9
	v_lshl_or_b32 v11, v8, 8, v1
	v_ashrrev_i32_e32 v1, 31, v0
	v_cmp_gt_i32_e32 vcc, s20, v0
	v_lshlrev_b64 v[0:1], 3, v[0:1]
	v_or_b32_e32 v7, s0, v9
	s_waitcnt lgkmcnt(0)
	v_mov_b32_e32 v2, s17
	v_add_co_u32_e64 v12, s[0:1], s16, v0
	v_or_b32_e32 v14, 8, v7
	v_addc_co_u32_e64 v13, s[0:1], v2, v1, s[0:1]
	v_mad_u64_u32 v[0:1], s[0:1], s14, v7, 0
	v_mad_u64_u32 v[2:3], s[0:1], s14, v14, 0
	v_or_b32_e32 v17, 16, v7
	v_or_b32_e32 v18, 24, v7
	v_mad_u64_u32 v[4:5], s[0:1], s15, v7, v[1:2]
	v_mov_b32_e32 v1, v3
	v_mad_u64_u32 v[5:6], s[0:1], s15, v14, v[1:2]
	v_cmp_le_u32_e64 s[0:1], s20, v7
	v_mov_b32_e32 v1, v4
	v_mov_b32_e32 v3, v5
	v_mad_u64_u32 v[4:5], s[4:5], s14, v17, 0
	v_mad_u64_u32 v[6:7], s[4:5], s14, v18, 0
	v_cmp_le_u32_e64 s[2:3], s20, v14
	v_lshlrev_b64 v[0:1], 3, v[0:1]
	v_mad_u64_u32 v[14:15], s[4:5], s15, v17, v[5:6]
	v_mov_b32_e32 v5, v7
	v_mad_u64_u32 v[15:16], s[4:5], s15, v18, v[5:6]
	v_mov_b32_e32 v5, v14
	v_lshlrev_b64 v[2:3], 3, v[2:3]
	v_mov_b32_e32 v7, v15
	v_lshlrev_b64 v[4:5], 3, v[4:5]
	v_lshlrev_b64 v[6:7], 3, v[6:7]
	v_cmp_le_u32_e64 s[4:5], s20, v17
	v_cmp_le_u32_e64 s[6:7], s20, v18
	s_mov_b32 s16, 0
	v_mov_b32_e32 v14, s13
	s_branch .LBB18_3
.LBB18_2:                               ;   in Loop: Header=BB18_3 Depth=1
	s_or_b64 exec, exec, s[10:11]
	s_add_i32 s16, s16, 32
	s_cmp_lt_i32 s16, s21
	s_cbranch_scc0 .LBB18_20
.LBB18_3:                               ; =>This Inner Loop Header: Depth=1
	v_add_u32_e32 v15, s16, v8
	v_ashrrev_i32_e32 v16, 31, v15
	v_cmp_le_i32_e64 s[8:9], s21, v15
	v_lshlrev_b64 v[15:16], 3, v[15:16]
	v_add_co_u32_e64 v15, s[10:11], s12, v15
	v_addc_co_u32_e64 v16, s[10:11], v14, v16, s[10:11]
	s_nor_b64 s[10:11], s[8:9], s[0:1]
	s_waitcnt vmcnt(0)
	s_barrier
	s_and_saveexec_b64 s[14:15], s[10:11]
	s_cbranch_execnz .LBB18_17
; %bb.4:                                ;   in Loop: Header=BB18_3 Depth=1
	s_or_b64 exec, exec, s[14:15]
	s_nor_b64 s[10:11], s[8:9], s[2:3]
	s_and_saveexec_b64 s[14:15], s[10:11]
	s_cbranch_execnz .LBB18_18
.LBB18_5:                               ;   in Loop: Header=BB18_3 Depth=1
	s_or_b64 exec, exec, s[14:15]
	s_nor_b64 s[10:11], s[8:9], s[4:5]
	s_and_saveexec_b64 s[14:15], s[10:11]
	s_cbranch_execnz .LBB18_19
.LBB18_6:                               ;   in Loop: Header=BB18_3 Depth=1
	s_or_b64 exec, exec, s[14:15]
	s_nor_b64 s[8:9], s[8:9], s[6:7]
	s_and_saveexec_b64 s[10:11], s[8:9]
	s_cbranch_execz .LBB18_8
.LBB18_7:                               ;   in Loop: Header=BB18_3 Depth=1
	v_add_co_u32_e64 v15, s[8:9], v15, v6
	v_addc_co_u32_e64 v16, s[8:9], v16, v7, s[8:9]
	global_load_dwordx2 v[15:16], v[15:16], off
	s_waitcnt vmcnt(0)
	ds_write_b64 v10, v[15:16] offset:6144
.LBB18_8:                               ;   in Loop: Header=BB18_3 Depth=1
	s_or_b64 exec, exec, s[10:11]
	v_add_u32_e32 v15, s16, v9
	v_cmp_gt_u32_e64 s[8:9], s21, v15
	s_and_b64 s[8:9], vcc, s[8:9]
	s_waitcnt lgkmcnt(0)
	s_barrier
	s_and_saveexec_b64 s[10:11], s[8:9]
	s_cbranch_execz .LBB18_10
; %bb.9:                                ;   in Loop: Header=BB18_3 Depth=1
	v_mad_u64_u32 v[16:17], s[8:9], s18, v15, 0
	v_mad_u64_u32 v[17:18], s[8:9], s19, v15, v[17:18]
	ds_read_b64 v[18:19], v11
	v_lshlrev_b64 v[16:17], 3, v[16:17]
	v_add_co_u32_e64 v16, s[8:9], v12, v16
	v_addc_co_u32_e64 v17, s[8:9], v13, v17, s[8:9]
	s_waitcnt lgkmcnt(0)
	global_store_dwordx2 v[16:17], v[18:19], off
.LBB18_10:                              ;   in Loop: Header=BB18_3 Depth=1
	s_or_b64 exec, exec, s[10:11]
	s_and_saveexec_b64 s[10:11], vcc
	s_cbranch_execz .LBB18_2
; %bb.11:                               ;   in Loop: Header=BB18_3 Depth=1
	v_add_u32_e32 v16, 8, v15
	v_cmp_gt_u32_e64 s[8:9], s21, v16
	s_and_saveexec_b64 s[14:15], s[8:9]
	s_cbranch_execz .LBB18_13
; %bb.12:                               ;   in Loop: Header=BB18_3 Depth=1
	v_mad_u64_u32 v[17:18], s[8:9], s18, v16, 0
	v_mad_u64_u32 v[18:19], s[8:9], s19, v16, v[18:19]
	ds_read_b64 v[19:20], v11 offset:64
	v_lshlrev_b64 v[16:17], 3, v[17:18]
	v_add_co_u32_e64 v16, s[8:9], v12, v16
	v_addc_co_u32_e64 v17, s[8:9], v13, v17, s[8:9]
	s_waitcnt lgkmcnt(0)
	global_store_dwordx2 v[16:17], v[19:20], off
.LBB18_13:                              ;   in Loop: Header=BB18_3 Depth=1
	s_or_b64 exec, exec, s[14:15]
	v_add_u32_e32 v16, 16, v15
	v_cmp_gt_u32_e64 s[8:9], s21, v16
	s_and_saveexec_b64 s[14:15], s[8:9]
	s_cbranch_execz .LBB18_15
; %bb.14:                               ;   in Loop: Header=BB18_3 Depth=1
	v_mad_u64_u32 v[17:18], s[8:9], s18, v16, 0
	v_mad_u64_u32 v[18:19], s[8:9], s19, v16, v[18:19]
	ds_read_b64 v[19:20], v11 offset:128
	v_lshlrev_b64 v[16:17], 3, v[17:18]
	v_add_co_u32_e64 v16, s[8:9], v12, v16
	v_addc_co_u32_e64 v17, s[8:9], v13, v17, s[8:9]
	s_waitcnt lgkmcnt(0)
	global_store_dwordx2 v[16:17], v[19:20], off
.LBB18_15:                              ;   in Loop: Header=BB18_3 Depth=1
	s_or_b64 exec, exec, s[14:15]
	v_add_u32_e32 v15, 24, v15
	v_cmp_gt_u32_e64 s[8:9], s21, v15
	s_and_b64 exec, exec, s[8:9]
	s_cbranch_execz .LBB18_2
; %bb.16:                               ;   in Loop: Header=BB18_3 Depth=1
	v_mad_u64_u32 v[16:17], s[8:9], s18, v15, 0
	v_mad_u64_u32 v[17:18], s[8:9], s19, v15, v[17:18]
	ds_read_b64 v[18:19], v11 offset:192
	v_lshlrev_b64 v[15:16], 3, v[16:17]
	v_add_co_u32_e64 v15, s[8:9], v12, v15
	v_addc_co_u32_e64 v16, s[8:9], v13, v16, s[8:9]
	s_waitcnt lgkmcnt(0)
	global_store_dwordx2 v[15:16], v[18:19], off
	s_branch .LBB18_2
.LBB18_17:                              ;   in Loop: Header=BB18_3 Depth=1
	v_add_co_u32_e64 v17, s[10:11], v15, v0
	v_addc_co_u32_e64 v18, s[10:11], v16, v1, s[10:11]
	global_load_dwordx2 v[17:18], v[17:18], off
	s_waitcnt vmcnt(0)
	ds_write_b64 v10, v[17:18]
	s_or_b64 exec, exec, s[14:15]
	s_nor_b64 s[10:11], s[8:9], s[2:3]
	s_and_saveexec_b64 s[14:15], s[10:11]
	s_cbranch_execz .LBB18_5
.LBB18_18:                              ;   in Loop: Header=BB18_3 Depth=1
	v_add_co_u32_e64 v17, s[10:11], v15, v2
	v_addc_co_u32_e64 v18, s[10:11], v16, v3, s[10:11]
	global_load_dwordx2 v[17:18], v[17:18], off
	s_waitcnt vmcnt(0)
	ds_write_b64 v10, v[17:18] offset:2048
	s_or_b64 exec, exec, s[14:15]
	s_nor_b64 s[10:11], s[8:9], s[4:5]
	s_and_saveexec_b64 s[14:15], s[10:11]
	s_cbranch_execz .LBB18_6
.LBB18_19:                              ;   in Loop: Header=BB18_3 Depth=1
	v_add_co_u32_e64 v17, s[10:11], v15, v4
	v_addc_co_u32_e64 v18, s[10:11], v16, v5, s[10:11]
	global_load_dwordx2 v[17:18], v[17:18], off
	s_waitcnt vmcnt(0)
	ds_write_b64 v10, v[17:18] offset:4096
	s_or_b64 exec, exec, s[14:15]
	s_nor_b64 s[8:9], s[8:9], s[6:7]
	s_and_saveexec_b64 s[10:11], s[8:9]
	s_cbranch_execnz .LBB18_7
	s_branch .LBB18_8
.LBB18_20:
	s_endpgm
	.section	.rodata,"a",@progbits
	.p2align	6, 0x0
	.amdhsa_kernel _ZN9rocsparseL27dense_transpose_back_kernelILj32ELj8Ei21rocsparse_complex_numIfEEEvT1_S3_PKT2_lPS4_l
		.amdhsa_group_segment_fixed_size 8192
		.amdhsa_private_segment_fixed_size 0
		.amdhsa_kernarg_size 40
		.amdhsa_user_sgpr_count 6
		.amdhsa_user_sgpr_private_segment_buffer 1
		.amdhsa_user_sgpr_dispatch_ptr 0
		.amdhsa_user_sgpr_queue_ptr 0
		.amdhsa_user_sgpr_kernarg_segment_ptr 1
		.amdhsa_user_sgpr_dispatch_id 0
		.amdhsa_user_sgpr_flat_scratch_init 0
		.amdhsa_user_sgpr_private_segment_size 0
		.amdhsa_uses_dynamic_stack 0
		.amdhsa_system_sgpr_private_segment_wavefront_offset 0
		.amdhsa_system_sgpr_workgroup_id_x 1
		.amdhsa_system_sgpr_workgroup_id_y 0
		.amdhsa_system_sgpr_workgroup_id_z 0
		.amdhsa_system_sgpr_workgroup_info 0
		.amdhsa_system_vgpr_workitem_id 0
		.amdhsa_next_free_vgpr 29
		.amdhsa_next_free_sgpr 61
		.amdhsa_reserve_vcc 1
		.amdhsa_reserve_flat_scratch 0
		.amdhsa_float_round_mode_32 0
		.amdhsa_float_round_mode_16_64 0
		.amdhsa_float_denorm_mode_32 3
		.amdhsa_float_denorm_mode_16_64 3
		.amdhsa_dx10_clamp 1
		.amdhsa_ieee_mode 1
		.amdhsa_fp16_overflow 0
		.amdhsa_exception_fp_ieee_invalid_op 0
		.amdhsa_exception_fp_denorm_src 0
		.amdhsa_exception_fp_ieee_div_zero 0
		.amdhsa_exception_fp_ieee_overflow 0
		.amdhsa_exception_fp_ieee_underflow 0
		.amdhsa_exception_fp_ieee_inexact 0
		.amdhsa_exception_int_div_zero 0
	.end_amdhsa_kernel
	.section	.text._ZN9rocsparseL27dense_transpose_back_kernelILj32ELj8Ei21rocsparse_complex_numIfEEEvT1_S3_PKT2_lPS4_l,"axG",@progbits,_ZN9rocsparseL27dense_transpose_back_kernelILj32ELj8Ei21rocsparse_complex_numIfEEEvT1_S3_PKT2_lPS4_l,comdat
.Lfunc_end18:
	.size	_ZN9rocsparseL27dense_transpose_back_kernelILj32ELj8Ei21rocsparse_complex_numIfEEEvT1_S3_PKT2_lPS4_l, .Lfunc_end18-_ZN9rocsparseL27dense_transpose_back_kernelILj32ELj8Ei21rocsparse_complex_numIfEEEvT1_S3_PKT2_lPS4_l
                                        ; -- End function
	.set _ZN9rocsparseL27dense_transpose_back_kernelILj32ELj8Ei21rocsparse_complex_numIfEEEvT1_S3_PKT2_lPS4_l.num_vgpr, 21
	.set _ZN9rocsparseL27dense_transpose_back_kernelILj32ELj8Ei21rocsparse_complex_numIfEEEvT1_S3_PKT2_lPS4_l.num_agpr, 0
	.set _ZN9rocsparseL27dense_transpose_back_kernelILj32ELj8Ei21rocsparse_complex_numIfEEEvT1_S3_PKT2_lPS4_l.numbered_sgpr, 22
	.set _ZN9rocsparseL27dense_transpose_back_kernelILj32ELj8Ei21rocsparse_complex_numIfEEEvT1_S3_PKT2_lPS4_l.num_named_barrier, 0
	.set _ZN9rocsparseL27dense_transpose_back_kernelILj32ELj8Ei21rocsparse_complex_numIfEEEvT1_S3_PKT2_lPS4_l.private_seg_size, 0
	.set _ZN9rocsparseL27dense_transpose_back_kernelILj32ELj8Ei21rocsparse_complex_numIfEEEvT1_S3_PKT2_lPS4_l.uses_vcc, 1
	.set _ZN9rocsparseL27dense_transpose_back_kernelILj32ELj8Ei21rocsparse_complex_numIfEEEvT1_S3_PKT2_lPS4_l.uses_flat_scratch, 0
	.set _ZN9rocsparseL27dense_transpose_back_kernelILj32ELj8Ei21rocsparse_complex_numIfEEEvT1_S3_PKT2_lPS4_l.has_dyn_sized_stack, 0
	.set _ZN9rocsparseL27dense_transpose_back_kernelILj32ELj8Ei21rocsparse_complex_numIfEEEvT1_S3_PKT2_lPS4_l.has_recursion, 0
	.set _ZN9rocsparseL27dense_transpose_back_kernelILj32ELj8Ei21rocsparse_complex_numIfEEEvT1_S3_PKT2_lPS4_l.has_indirect_call, 0
	.section	.AMDGPU.csdata,"",@progbits
; Kernel info:
; codeLenInByte = 972
; TotalNumSgprs: 26
; NumVgprs: 21
; ScratchSize: 0
; MemoryBound: 0
; FloatMode: 240
; IeeeMode: 1
; LDSByteSize: 8192 bytes/workgroup (compile time only)
; SGPRBlocks: 8
; VGPRBlocks: 7
; NumSGPRsForWavesPerEU: 65
; NumVGPRsForWavesPerEU: 29
; Occupancy: 8
; WaveLimiterHint : 0
; COMPUTE_PGM_RSRC2:SCRATCH_EN: 0
; COMPUTE_PGM_RSRC2:USER_SGPR: 6
; COMPUTE_PGM_RSRC2:TRAP_HANDLER: 0
; COMPUTE_PGM_RSRC2:TGID_X_EN: 1
; COMPUTE_PGM_RSRC2:TGID_Y_EN: 0
; COMPUTE_PGM_RSRC2:TGID_Z_EN: 0
; COMPUTE_PGM_RSRC2:TIDIG_COMP_CNT: 0
	.section	.text._ZN9rocsparseL27dense_transpose_back_kernelILj32ELj8Ei21rocsparse_complex_numIdEEEvT1_S3_PKT2_lPS4_l,"axG",@progbits,_ZN9rocsparseL27dense_transpose_back_kernelILj32ELj8Ei21rocsparse_complex_numIdEEEvT1_S3_PKT2_lPS4_l,comdat
	.globl	_ZN9rocsparseL27dense_transpose_back_kernelILj32ELj8Ei21rocsparse_complex_numIdEEEvT1_S3_PKT2_lPS4_l ; -- Begin function _ZN9rocsparseL27dense_transpose_back_kernelILj32ELj8Ei21rocsparse_complex_numIdEEEvT1_S3_PKT2_lPS4_l
	.p2align	8
	.type	_ZN9rocsparseL27dense_transpose_back_kernelILj32ELj8Ei21rocsparse_complex_numIdEEEvT1_S3_PKT2_lPS4_l,@function
_ZN9rocsparseL27dense_transpose_back_kernelILj32ELj8Ei21rocsparse_complex_numIdEEEvT1_S3_PKT2_lPS4_l: ; @_ZN9rocsparseL27dense_transpose_back_kernelILj32ELj8Ei21rocsparse_complex_numIdEEEvT1_S3_PKT2_lPS4_l
; %bb.0:
	s_load_dwordx2 s[20:21], s[4:5], 0x0
	s_waitcnt lgkmcnt(0)
	s_cmp_lt_i32 s21, 1
	s_cbranch_scc1 .LBB19_20
; %bb.1:
	v_and_b32_e32 v8, 31, v0
	s_load_dwordx8 s[12:19], s[4:5], 0x8
	v_lshrrev_b32_e32 v9, 5, v0
	s_lshl_b32 s0, s6, 5
	v_lshlrev_b32_e32 v1, 4, v8
	v_or_b32_e32 v0, s0, v8
	v_lshl_or_b32 v10, v9, 9, v1
	v_lshlrev_b32_e32 v1, 4, v9
	v_lshl_or_b32 v11, v8, 9, v1
	v_ashrrev_i32_e32 v1, 31, v0
	v_cmp_gt_i32_e32 vcc, s20, v0
	v_lshlrev_b64 v[0:1], 4, v[0:1]
	v_or_b32_e32 v7, s0, v9
	s_waitcnt lgkmcnt(0)
	v_mov_b32_e32 v2, s17
	v_add_co_u32_e64 v12, s[0:1], s16, v0
	v_or_b32_e32 v14, 8, v7
	v_addc_co_u32_e64 v13, s[0:1], v2, v1, s[0:1]
	v_mad_u64_u32 v[0:1], s[0:1], s14, v7, 0
	v_mad_u64_u32 v[2:3], s[0:1], s14, v14, 0
	v_or_b32_e32 v15, 16, v7
	v_or_b32_e32 v18, 24, v7
	v_mad_u64_u32 v[4:5], s[0:1], s15, v7, v[1:2]
	v_mov_b32_e32 v1, v3
	v_mad_u64_u32 v[5:6], s[0:1], s15, v14, v[1:2]
	v_cmp_le_u32_e64 s[0:1], s20, v7
	v_mov_b32_e32 v1, v4
	v_mov_b32_e32 v3, v5
	v_mad_u64_u32 v[4:5], s[6:7], s14, v15, 0
	v_mad_u64_u32 v[6:7], s[6:7], s14, v18, 0
	v_cmp_le_u32_e64 s[4:5], s20, v15
	v_lshlrev_b64 v[0:1], 4, v[0:1]
	v_mad_u64_u32 v[15:16], s[6:7], s15, v15, v[5:6]
	v_mov_b32_e32 v5, v7
	v_mad_u64_u32 v[16:17], s[6:7], s15, v18, v[5:6]
	v_mov_b32_e32 v5, v15
	v_lshlrev_b64 v[2:3], 4, v[2:3]
	v_mov_b32_e32 v7, v16
	v_lshlrev_b64 v[4:5], 4, v[4:5]
	v_lshlrev_b64 v[6:7], 4, v[6:7]
	v_cmp_le_u32_e64 s[2:3], s20, v14
	v_or_b32_e32 v14, 0x1000, v10
	v_or_b32_e32 v15, 0x2000, v10
	v_cmp_le_u32_e64 s[6:7], s20, v18
	v_or_b32_e32 v16, 0x3000, v10
	v_or_b32_e32 v17, 0x80, v11
	;; [unrolled: 1-line block ×4, first 2 shown]
	s_mov_b32 s16, 0
	v_mov_b32_e32 v20, s13
	s_branch .LBB19_3
.LBB19_2:                               ;   in Loop: Header=BB19_3 Depth=1
	s_or_b64 exec, exec, s[10:11]
	s_add_i32 s16, s16, 32
	s_cmp_lt_i32 s16, s21
	s_cbranch_scc0 .LBB19_20
.LBB19_3:                               ; =>This Inner Loop Header: Depth=1
	v_add_u32_e32 v21, s16, v8
	v_ashrrev_i32_e32 v22, 31, v21
	v_cmp_le_i32_e64 s[8:9], s21, v21
	v_lshlrev_b64 v[21:22], 4, v[21:22]
	v_add_co_u32_e64 v21, s[10:11], s12, v21
	v_addc_co_u32_e64 v22, s[10:11], v20, v22, s[10:11]
	s_nor_b64 s[10:11], s[8:9], s[0:1]
	s_waitcnt vmcnt(0)
	s_barrier
	s_and_saveexec_b64 s[14:15], s[10:11]
	s_cbranch_execnz .LBB19_17
; %bb.4:                                ;   in Loop: Header=BB19_3 Depth=1
	s_or_b64 exec, exec, s[14:15]
	s_nor_b64 s[10:11], s[8:9], s[2:3]
	s_and_saveexec_b64 s[14:15], s[10:11]
	s_cbranch_execnz .LBB19_18
.LBB19_5:                               ;   in Loop: Header=BB19_3 Depth=1
	s_or_b64 exec, exec, s[14:15]
	s_nor_b64 s[10:11], s[8:9], s[4:5]
	s_and_saveexec_b64 s[14:15], s[10:11]
	s_cbranch_execnz .LBB19_19
.LBB19_6:                               ;   in Loop: Header=BB19_3 Depth=1
	s_or_b64 exec, exec, s[14:15]
	s_nor_b64 s[8:9], s[8:9], s[6:7]
	s_and_saveexec_b64 s[10:11], s[8:9]
	s_cbranch_execz .LBB19_8
.LBB19_7:                               ;   in Loop: Header=BB19_3 Depth=1
	v_add_co_u32_e64 v21, s[8:9], v21, v6
	v_addc_co_u32_e64 v22, s[8:9], v22, v7, s[8:9]
	global_load_dwordx4 v[21:24], v[21:22], off
	s_waitcnt vmcnt(0)
	ds_write2_b64 v16, v[21:22], v[23:24] offset1:1
.LBB19_8:                               ;   in Loop: Header=BB19_3 Depth=1
	s_or_b64 exec, exec, s[10:11]
	v_add_u32_e32 v21, s16, v9
	v_cmp_gt_u32_e64 s[8:9], s21, v21
	s_and_b64 s[8:9], vcc, s[8:9]
	s_waitcnt lgkmcnt(0)
	s_barrier
	s_and_saveexec_b64 s[10:11], s[8:9]
	s_cbranch_execz .LBB19_10
; %bb.9:                                ;   in Loop: Header=BB19_3 Depth=1
	v_mad_u64_u32 v[26:27], s[8:9], s18, v21, 0
	v_mov_b32_e32 v22, v27
	v_mad_u64_u32 v[27:28], s[8:9], s19, v21, v[22:23]
	ds_read2_b64 v[22:25], v11 offset1:1
	v_lshlrev_b64 v[26:27], 4, v[26:27]
	v_add_co_u32_e64 v26, s[8:9], v12, v26
	v_addc_co_u32_e64 v27, s[8:9], v13, v27, s[8:9]
	s_waitcnt lgkmcnt(0)
	global_store_dwordx4 v[26:27], v[22:25], off
.LBB19_10:                              ;   in Loop: Header=BB19_3 Depth=1
	s_or_b64 exec, exec, s[10:11]
	s_and_saveexec_b64 s[10:11], vcc
	s_cbranch_execz .LBB19_2
; %bb.11:                               ;   in Loop: Header=BB19_3 Depth=1
	v_add_u32_e32 v22, 8, v21
	v_cmp_gt_u32_e64 s[8:9], s21, v22
	s_and_saveexec_b64 s[14:15], s[8:9]
	s_cbranch_execz .LBB19_13
; %bb.12:                               ;   in Loop: Header=BB19_3 Depth=1
	v_mad_u64_u32 v[26:27], s[8:9], s18, v22, 0
	v_mov_b32_e32 v23, v27
	v_mad_u64_u32 v[27:28], s[8:9], s19, v22, v[23:24]
	ds_read2_b64 v[22:25], v17 offset1:1
	v_lshlrev_b64 v[26:27], 4, v[26:27]
	v_add_co_u32_e64 v26, s[8:9], v12, v26
	v_addc_co_u32_e64 v27, s[8:9], v13, v27, s[8:9]
	s_waitcnt lgkmcnt(0)
	global_store_dwordx4 v[26:27], v[22:25], off
.LBB19_13:                              ;   in Loop: Header=BB19_3 Depth=1
	s_or_b64 exec, exec, s[14:15]
	v_add_u32_e32 v22, 16, v21
	v_cmp_gt_u32_e64 s[8:9], s21, v22
	s_and_saveexec_b64 s[14:15], s[8:9]
	s_cbranch_execz .LBB19_15
; %bb.14:                               ;   in Loop: Header=BB19_3 Depth=1
	v_mad_u64_u32 v[26:27], s[8:9], s18, v22, 0
	v_mov_b32_e32 v23, v27
	v_mad_u64_u32 v[27:28], s[8:9], s19, v22, v[23:24]
	ds_read2_b64 v[22:25], v18 offset1:1
	v_lshlrev_b64 v[26:27], 4, v[26:27]
	v_add_co_u32_e64 v26, s[8:9], v12, v26
	v_addc_co_u32_e64 v27, s[8:9], v13, v27, s[8:9]
	s_waitcnt lgkmcnt(0)
	global_store_dwordx4 v[26:27], v[22:25], off
.LBB19_15:                              ;   in Loop: Header=BB19_3 Depth=1
	s_or_b64 exec, exec, s[14:15]
	v_add_u32_e32 v21, 24, v21
	v_cmp_gt_u32_e64 s[8:9], s21, v21
	s_and_b64 exec, exec, s[8:9]
	s_cbranch_execz .LBB19_2
; %bb.16:                               ;   in Loop: Header=BB19_3 Depth=1
	v_mad_u64_u32 v[25:26], s[8:9], s18, v21, 0
	v_mov_b32_e32 v22, v26
	v_mad_u64_u32 v[26:27], s[8:9], s19, v21, v[22:23]
	ds_read2_b64 v[21:24], v19 offset1:1
	v_lshlrev_b64 v[25:26], 4, v[25:26]
	v_add_co_u32_e64 v25, s[8:9], v12, v25
	v_addc_co_u32_e64 v26, s[8:9], v13, v26, s[8:9]
	s_waitcnt lgkmcnt(0)
	global_store_dwordx4 v[25:26], v[21:24], off
	s_branch .LBB19_2
.LBB19_17:                              ;   in Loop: Header=BB19_3 Depth=1
	v_add_co_u32_e64 v23, s[10:11], v21, v0
	v_addc_co_u32_e64 v24, s[10:11], v22, v1, s[10:11]
	global_load_dwordx4 v[23:26], v[23:24], off
	s_waitcnt vmcnt(0)
	ds_write2_b64 v10, v[23:24], v[25:26] offset1:1
	s_or_b64 exec, exec, s[14:15]
	s_nor_b64 s[10:11], s[8:9], s[2:3]
	s_and_saveexec_b64 s[14:15], s[10:11]
	s_cbranch_execz .LBB19_5
.LBB19_18:                              ;   in Loop: Header=BB19_3 Depth=1
	v_add_co_u32_e64 v23, s[10:11], v21, v2
	v_addc_co_u32_e64 v24, s[10:11], v22, v3, s[10:11]
	global_load_dwordx4 v[23:26], v[23:24], off
	s_waitcnt vmcnt(0)
	ds_write2_b64 v14, v[23:24], v[25:26] offset1:1
	s_or_b64 exec, exec, s[14:15]
	s_nor_b64 s[10:11], s[8:9], s[4:5]
	s_and_saveexec_b64 s[14:15], s[10:11]
	s_cbranch_execz .LBB19_6
.LBB19_19:                              ;   in Loop: Header=BB19_3 Depth=1
	v_add_co_u32_e64 v23, s[10:11], v21, v4
	v_addc_co_u32_e64 v24, s[10:11], v22, v5, s[10:11]
	global_load_dwordx4 v[23:26], v[23:24], off
	s_waitcnt vmcnt(0)
	ds_write2_b64 v15, v[23:24], v[25:26] offset1:1
	s_or_b64 exec, exec, s[14:15]
	s_nor_b64 s[8:9], s[8:9], s[6:7]
	s_and_saveexec_b64 s[10:11], s[8:9]
	s_cbranch_execnz .LBB19_7
	s_branch .LBB19_8
.LBB19_20:
	s_endpgm
	.section	.rodata,"a",@progbits
	.p2align	6, 0x0
	.amdhsa_kernel _ZN9rocsparseL27dense_transpose_back_kernelILj32ELj8Ei21rocsparse_complex_numIdEEEvT1_S3_PKT2_lPS4_l
		.amdhsa_group_segment_fixed_size 16384
		.amdhsa_private_segment_fixed_size 0
		.amdhsa_kernarg_size 40
		.amdhsa_user_sgpr_count 6
		.amdhsa_user_sgpr_private_segment_buffer 1
		.amdhsa_user_sgpr_dispatch_ptr 0
		.amdhsa_user_sgpr_queue_ptr 0
		.amdhsa_user_sgpr_kernarg_segment_ptr 1
		.amdhsa_user_sgpr_dispatch_id 0
		.amdhsa_user_sgpr_flat_scratch_init 0
		.amdhsa_user_sgpr_private_segment_size 0
		.amdhsa_uses_dynamic_stack 0
		.amdhsa_system_sgpr_private_segment_wavefront_offset 0
		.amdhsa_system_sgpr_workgroup_id_x 1
		.amdhsa_system_sgpr_workgroup_id_y 0
		.amdhsa_system_sgpr_workgroup_id_z 0
		.amdhsa_system_sgpr_workgroup_info 0
		.amdhsa_system_vgpr_workitem_id 0
		.amdhsa_next_free_vgpr 49
		.amdhsa_next_free_sgpr 98
		.amdhsa_reserve_vcc 1
		.amdhsa_reserve_flat_scratch 0
		.amdhsa_float_round_mode_32 0
		.amdhsa_float_round_mode_16_64 0
		.amdhsa_float_denorm_mode_32 3
		.amdhsa_float_denorm_mode_16_64 3
		.amdhsa_dx10_clamp 1
		.amdhsa_ieee_mode 1
		.amdhsa_fp16_overflow 0
		.amdhsa_exception_fp_ieee_invalid_op 0
		.amdhsa_exception_fp_denorm_src 0
		.amdhsa_exception_fp_ieee_div_zero 0
		.amdhsa_exception_fp_ieee_overflow 0
		.amdhsa_exception_fp_ieee_underflow 0
		.amdhsa_exception_fp_ieee_inexact 0
		.amdhsa_exception_int_div_zero 0
	.end_amdhsa_kernel
	.section	.text._ZN9rocsparseL27dense_transpose_back_kernelILj32ELj8Ei21rocsparse_complex_numIdEEEvT1_S3_PKT2_lPS4_l,"axG",@progbits,_ZN9rocsparseL27dense_transpose_back_kernelILj32ELj8Ei21rocsparse_complex_numIdEEEvT1_S3_PKT2_lPS4_l,comdat
.Lfunc_end19:
	.size	_ZN9rocsparseL27dense_transpose_back_kernelILj32ELj8Ei21rocsparse_complex_numIdEEEvT1_S3_PKT2_lPS4_l, .Lfunc_end19-_ZN9rocsparseL27dense_transpose_back_kernelILj32ELj8Ei21rocsparse_complex_numIdEEEvT1_S3_PKT2_lPS4_l
                                        ; -- End function
	.set _ZN9rocsparseL27dense_transpose_back_kernelILj32ELj8Ei21rocsparse_complex_numIdEEEvT1_S3_PKT2_lPS4_l.num_vgpr, 29
	.set _ZN9rocsparseL27dense_transpose_back_kernelILj32ELj8Ei21rocsparse_complex_numIdEEEvT1_S3_PKT2_lPS4_l.num_agpr, 0
	.set _ZN9rocsparseL27dense_transpose_back_kernelILj32ELj8Ei21rocsparse_complex_numIdEEEvT1_S3_PKT2_lPS4_l.numbered_sgpr, 22
	.set _ZN9rocsparseL27dense_transpose_back_kernelILj32ELj8Ei21rocsparse_complex_numIdEEEvT1_S3_PKT2_lPS4_l.num_named_barrier, 0
	.set _ZN9rocsparseL27dense_transpose_back_kernelILj32ELj8Ei21rocsparse_complex_numIdEEEvT1_S3_PKT2_lPS4_l.private_seg_size, 0
	.set _ZN9rocsparseL27dense_transpose_back_kernelILj32ELj8Ei21rocsparse_complex_numIdEEEvT1_S3_PKT2_lPS4_l.uses_vcc, 1
	.set _ZN9rocsparseL27dense_transpose_back_kernelILj32ELj8Ei21rocsparse_complex_numIdEEEvT1_S3_PKT2_lPS4_l.uses_flat_scratch, 0
	.set _ZN9rocsparseL27dense_transpose_back_kernelILj32ELj8Ei21rocsparse_complex_numIdEEEvT1_S3_PKT2_lPS4_l.has_dyn_sized_stack, 0
	.set _ZN9rocsparseL27dense_transpose_back_kernelILj32ELj8Ei21rocsparse_complex_numIdEEEvT1_S3_PKT2_lPS4_l.has_recursion, 0
	.set _ZN9rocsparseL27dense_transpose_back_kernelILj32ELj8Ei21rocsparse_complex_numIdEEEvT1_S3_PKT2_lPS4_l.has_indirect_call, 0
	.section	.AMDGPU.csdata,"",@progbits
; Kernel info:
; codeLenInByte = 1036
; TotalNumSgprs: 26
; NumVgprs: 29
; ScratchSize: 0
; MemoryBound: 0
; FloatMode: 240
; IeeeMode: 1
; LDSByteSize: 16384 bytes/workgroup (compile time only)
; SGPRBlocks: 12
; VGPRBlocks: 12
; NumSGPRsForWavesPerEU: 102
; NumVGPRsForWavesPerEU: 49
; Occupancy: 4
; WaveLimiterHint : 0
; COMPUTE_PGM_RSRC2:SCRATCH_EN: 0
; COMPUTE_PGM_RSRC2:USER_SGPR: 6
; COMPUTE_PGM_RSRC2:TRAP_HANDLER: 0
; COMPUTE_PGM_RSRC2:TGID_X_EN: 1
; COMPUTE_PGM_RSRC2:TGID_Y_EN: 0
; COMPUTE_PGM_RSRC2:TGID_Z_EN: 0
; COMPUTE_PGM_RSRC2:TIDIG_COMP_CNT: 0
	.section	.text._ZN9rocsparseL27dense_transpose_back_kernelILj32ELj8ElfEEvT1_S1_PKT2_lPS2_l,"axG",@progbits,_ZN9rocsparseL27dense_transpose_back_kernelILj32ELj8ElfEEvT1_S1_PKT2_lPS2_l,comdat
	.globl	_ZN9rocsparseL27dense_transpose_back_kernelILj32ELj8ElfEEvT1_S1_PKT2_lPS2_l ; -- Begin function _ZN9rocsparseL27dense_transpose_back_kernelILj32ELj8ElfEEvT1_S1_PKT2_lPS2_l
	.p2align	8
	.type	_ZN9rocsparseL27dense_transpose_back_kernelILj32ELj8ElfEEvT1_S1_PKT2_lPS2_l,@function
_ZN9rocsparseL27dense_transpose_back_kernelILj32ELj8ElfEEvT1_S1_PKT2_lPS2_l: ; @_ZN9rocsparseL27dense_transpose_back_kernelILj32ELj8ElfEEvT1_S1_PKT2_lPS2_l
; %bb.0:
	s_load_dwordx8 s[12:19], s[4:5], 0x0
	s_waitcnt lgkmcnt(0)
	v_cmp_lt_i64_e64 s[0:1], s[14:15], 1
	s_and_b64 vcc, exec, s[0:1]
	s_cbranch_vccnz .LBB20_20
; %bb.1:
	s_load_dwordx4 s[8:11], s[4:5], 0x20
	v_lshrrev_b32_e32 v12, 5, v0
	v_or_b32_e32 v5, 24, v12
	v_or_b32_e32 v7, 8, v12
	s_lshl_b32 s20, s6, 5
	s_waitcnt lgkmcnt(0)
	v_mad_u64_u32 v[1:2], s[0:1], s10, v12, 0
	v_mov_b32_e32 v6, s9
	v_or_b32_e32 v8, s20, v12
	v_mad_u64_u32 v[2:3], s[0:1], s11, v12, v[2:3]
	v_mad_u64_u32 v[3:4], s[0:1], s10, v5, 0
	v_lshlrev_b64 v[1:2], 2, v[1:2]
	v_mov_b32_e32 v10, s9
	v_mad_u64_u32 v[4:5], s[0:1], s11, v5, v[4:5]
	v_add_co_u32_e32 v14, vcc, s8, v1
	v_addc_co_u32_e32 v15, vcc, v6, v2, vcc
	v_or_b32_e32 v6, 16, v12
	v_lshlrev_b64 v[1:2], 2, v[3:4]
	v_mad_u64_u32 v[3:4], s[0:1], s10, v6, 0
	v_mov_b32_e32 v5, s9
	v_add_co_u32_e32 v16, vcc, s8, v1
	v_mov_b32_e32 v1, v4
	v_addc_co_u32_e32 v17, vcc, v5, v2, vcc
	v_mad_u64_u32 v[1:2], s[0:1], s11, v6, v[1:2]
	v_mad_u64_u32 v[5:6], s[0:1], s10, v7, 0
	v_mov_b32_e32 v4, v1
	v_lshlrev_b64 v[1:2], 2, v[3:4]
	v_mov_b32_e32 v3, v6
	v_mad_u64_u32 v[3:4], s[0:1], s11, v7, v[3:4]
	v_add_co_u32_e32 v18, vcc, s8, v1
	v_mov_b32_e32 v6, v3
	v_mad_u64_u32 v[3:4], s[0:1], s18, v8, 0
	v_addc_co_u32_e32 v19, vcc, v10, v2, vcc
	v_lshlrev_b64 v[1:2], 2, v[5:6]
	v_mov_b32_e32 v5, s9
	v_add_co_u32_e32 v20, vcc, s8, v1
	v_mov_b32_e32 v1, v4
	v_and_b32_e32 v13, 31, v0
	v_or_b32_e32 v0, 8, v8
	v_addc_co_u32_e32 v21, vcc, v5, v2, vcc
	v_mad_u64_u32 v[4:5], s[0:1], s19, v8, v[1:2]
	v_mad_u64_u32 v[5:6], s[0:1], s18, v0, 0
	v_mov_b32_e32 v9, 0
	v_mov_b32_e32 v1, v9
	v_cmp_le_i64_e64 s[0:1], s[12:13], v[0:1]
	v_mov_b32_e32 v1, v6
	v_mad_u64_u32 v[6:7], s[2:3], s19, v0, v[1:2]
	v_lshlrev_b64 v[0:1], 2, v[3:4]
	v_lshlrev_b32_e32 v24, 2, v13
	v_add_co_u32_e32 v0, vcc, v0, v24
	v_addc_co_u32_e32 v1, vcc, 0, v1, vcc
	v_mov_b32_e32 v2, s17
	v_add_co_u32_e32 v0, vcc, s16, v0
	v_addc_co_u32_e32 v1, vcc, v2, v1, vcc
	v_or_b32_e32 v2, 16, v8
	v_mad_u64_u32 v[10:11], s[2:3], s18, v2, 0
	v_mov_b32_e32 v3, v9
	v_cmp_le_i64_e64 s[2:3], s[12:13], v[2:3]
	v_mov_b32_e32 v3, v11
	v_mad_u64_u32 v[22:23], s[4:5], s19, v2, v[3:4]
	v_lshlrev_b64 v[2:3], 2, v[5:6]
	v_mov_b32_e32 v4, s17
	v_add_co_u32_e32 v2, vcc, v2, v24
	v_addc_co_u32_e32 v3, vcc, 0, v3, vcc
	v_add_co_u32_e32 v2, vcc, s16, v2
	v_addc_co_u32_e32 v3, vcc, v4, v3, vcc
	v_or_b32_e32 v4, 24, v8
	v_mad_u64_u32 v[6:7], s[4:5], s18, v4, 0
	v_mov_b32_e32 v5, v9
	v_mov_b32_e32 v11, v22
	v_cmp_le_i64_e64 s[4:5], s[12:13], v[4:5]
	v_mov_b32_e32 v5, v7
	v_mad_u64_u32 v[22:23], s[6:7], s19, v4, v[5:6]
	v_lshlrev_b64 v[4:5], 2, v[10:11]
	v_mov_b32_e32 v7, s17
	v_add_co_u32_e32 v4, vcc, v4, v24
	v_addc_co_u32_e32 v5, vcc, 0, v5, vcc
	v_add_co_u32_e32 v4, vcc, s16, v4
	v_addc_co_u32_e32 v5, vcc, v7, v5, vcc
	v_mov_b32_e32 v7, v22
	v_lshlrev_b64 v[6:7], 2, v[6:7]
	v_mov_b32_e32 v10, s17
	v_add_co_u32_e32 v6, vcc, v6, v24
	v_addc_co_u32_e32 v7, vcc, 0, v7, vcc
	v_add_co_u32_e32 v6, vcc, s16, v6
	v_cmp_le_i64_e64 s[6:7], s[12:13], v[8:9]
	v_or_b32_e32 v8, s20, v13
	v_addc_co_u32_e32 v7, vcc, v10, v7, vcc
	v_cmp_gt_i64_e64 s[8:9], s[12:13], v[8:9]
	v_lshlrev_b32_e32 v10, 2, v12
	v_lshlrev_b64 v[8:9], 2, v[8:9]
	v_lshl_or_b32 v22, v12, 7, v24
	v_lshl_or_b32 v23, v13, 7, v10
	s_lshl_b64 s[12:13], s[10:11], 7
	s_mov_b64 s[16:17], 0
	s_movk_i32 s20, 0x80
	s_branch .LBB20_3
.LBB20_2:                               ;   in Loop: Header=BB20_3 Depth=1
	s_or_b64 exec, exec, s[10:11]
	v_mov_b32_e32 v10, s13
	v_add_co_u32_e32 v14, vcc, s12, v14
	v_addc_co_u32_e32 v15, vcc, v15, v10, vcc
	v_add_co_u32_e32 v16, vcc, s12, v16
	v_addc_co_u32_e32 v17, vcc, v17, v10, vcc
	;; [unrolled: 2-line block ×6, first 2 shown]
	s_add_u32 s16, s16, 32
	v_add_co_u32_e32 v4, vcc, 0x80, v4
	v_mov_b32_e32 v10, s14
	s_addc_u32 s17, s17, 0
	v_addc_co_u32_e32 v5, vcc, 0, v5, vcc
	v_mov_b32_e32 v11, s15
	v_add_co_u32_e32 v6, vcc, 0x80, v6
	v_cmp_lt_i64_e64 s[10:11], s[16:17], v[10:11]
	v_addc_co_u32_e32 v7, vcc, 0, v7, vcc
	s_and_b64 vcc, exec, s[10:11]
	s_cbranch_vccz .LBB20_20
.LBB20_3:                               ; =>This Inner Loop Header: Depth=1
	v_mov_b32_e32 v11, s17
	v_add_co_u32_e32 v10, vcc, s16, v13
	v_addc_co_u32_e32 v11, vcc, 0, v11, vcc
	v_cmp_le_i64_e32 vcc, s[14:15], v[10:11]
	s_nor_b64 s[18:19], vcc, s[6:7]
	s_waitcnt vmcnt(0)
	s_barrier
	s_and_saveexec_b64 s[10:11], s[18:19]
	s_cbranch_execnz .LBB20_17
; %bb.4:                                ;   in Loop: Header=BB20_3 Depth=1
	s_or_b64 exec, exec, s[10:11]
	s_nor_b64 s[18:19], vcc, s[0:1]
	s_and_saveexec_b64 s[10:11], s[18:19]
	s_cbranch_execnz .LBB20_18
.LBB20_5:                               ;   in Loop: Header=BB20_3 Depth=1
	s_or_b64 exec, exec, s[10:11]
	s_nor_b64 s[18:19], vcc, s[2:3]
	s_and_saveexec_b64 s[10:11], s[18:19]
	s_cbranch_execnz .LBB20_19
.LBB20_6:                               ;   in Loop: Header=BB20_3 Depth=1
	s_or_b64 exec, exec, s[10:11]
	s_nor_b64 s[18:19], vcc, s[4:5]
	s_and_saveexec_b64 s[10:11], s[18:19]
	s_cbranch_execz .LBB20_8
.LBB20_7:                               ;   in Loop: Header=BB20_3 Depth=1
	global_load_dword v10, v[6:7], off
	s_waitcnt vmcnt(0)
	ds_write_b32 v22, v10 offset:3072
.LBB20_8:                               ;   in Loop: Header=BB20_3 Depth=1
	s_or_b64 exec, exec, s[10:11]
	v_mov_b32_e32 v11, s17
	v_add_co_u32_e32 v10, vcc, s16, v12
	v_addc_co_u32_e32 v11, vcc, 0, v11, vcc
	v_cmp_gt_i64_e32 vcc, s[14:15], v[10:11]
	s_waitcnt lgkmcnt(0)
	s_and_b64 s[18:19], s[8:9], vcc
	s_barrier
	s_and_saveexec_b64 s[10:11], s[18:19]
	s_cbranch_execz .LBB20_10
; %bb.9:                                ;   in Loop: Header=BB20_3 Depth=1
	ds_read_b32 v26, v23
	v_add_co_u32_e32 v24, vcc, v14, v8
	v_addc_co_u32_e32 v25, vcc, v15, v9, vcc
	s_waitcnt lgkmcnt(0)
	global_store_dword v[24:25], v26, off
.LBB20_10:                              ;   in Loop: Header=BB20_3 Depth=1
	s_or_b64 exec, exec, s[10:11]
	s_and_saveexec_b64 s[10:11], s[8:9]
	s_cbranch_execz .LBB20_2
; %bb.11:                               ;   in Loop: Header=BB20_3 Depth=1
	v_add_co_u32_e32 v24, vcc, 8, v10
	v_addc_co_u32_e32 v25, vcc, 0, v11, vcc
	v_cmp_gt_i64_e32 vcc, s[14:15], v[24:25]
	s_and_saveexec_b64 s[18:19], vcc
	s_cbranch_execz .LBB20_13
; %bb.12:                               ;   in Loop: Header=BB20_3 Depth=1
	ds_read_b32 v26, v23 offset:32
	v_add_co_u32_e32 v24, vcc, v20, v8
	v_addc_co_u32_e32 v25, vcc, v21, v9, vcc
	s_waitcnt lgkmcnt(0)
	global_store_dword v[24:25], v26, off
.LBB20_13:                              ;   in Loop: Header=BB20_3 Depth=1
	s_or_b64 exec, exec, s[18:19]
	v_add_co_u32_e32 v24, vcc, 16, v10
	v_addc_co_u32_e32 v25, vcc, 0, v11, vcc
	v_cmp_gt_i64_e32 vcc, s[14:15], v[24:25]
	s_and_saveexec_b64 s[18:19], vcc
	s_cbranch_execz .LBB20_15
; %bb.14:                               ;   in Loop: Header=BB20_3 Depth=1
	ds_read_b32 v26, v23 offset:64
	v_add_co_u32_e32 v24, vcc, v18, v8
	v_addc_co_u32_e32 v25, vcc, v19, v9, vcc
	s_waitcnt lgkmcnt(0)
	global_store_dword v[24:25], v26, off
.LBB20_15:                              ;   in Loop: Header=BB20_3 Depth=1
	s_or_b64 exec, exec, s[18:19]
	v_add_co_u32_e32 v10, vcc, 24, v10
	v_addc_co_u32_e32 v11, vcc, 0, v11, vcc
	v_cmp_gt_i64_e32 vcc, s[14:15], v[10:11]
	s_and_b64 exec, exec, vcc
	s_cbranch_execz .LBB20_2
; %bb.16:                               ;   in Loop: Header=BB20_3 Depth=1
	ds_read_b32 v24, v23 offset:96
	v_add_co_u32_e32 v10, vcc, v16, v8
	v_addc_co_u32_e32 v11, vcc, v17, v9, vcc
	s_waitcnt lgkmcnt(0)
	global_store_dword v[10:11], v24, off
	s_branch .LBB20_2
.LBB20_17:                              ;   in Loop: Header=BB20_3 Depth=1
	global_load_dword v10, v[0:1], off
	s_waitcnt vmcnt(0)
	ds_write_b32 v22, v10
	s_or_b64 exec, exec, s[10:11]
	s_nor_b64 s[18:19], vcc, s[0:1]
	s_and_saveexec_b64 s[10:11], s[18:19]
	s_cbranch_execz .LBB20_5
.LBB20_18:                              ;   in Loop: Header=BB20_3 Depth=1
	global_load_dword v10, v[2:3], off
	s_waitcnt vmcnt(0)
	ds_write_b32 v22, v10 offset:1024
	s_or_b64 exec, exec, s[10:11]
	s_nor_b64 s[18:19], vcc, s[2:3]
	s_and_saveexec_b64 s[10:11], s[18:19]
	s_cbranch_execz .LBB20_6
.LBB20_19:                              ;   in Loop: Header=BB20_3 Depth=1
	global_load_dword v10, v[4:5], off
	s_waitcnt vmcnt(0)
	ds_write_b32 v22, v10 offset:2048
	s_or_b64 exec, exec, s[10:11]
	s_nor_b64 s[18:19], vcc, s[4:5]
	s_and_saveexec_b64 s[10:11], s[18:19]
	s_cbranch_execnz .LBB20_7
	s_branch .LBB20_8
.LBB20_20:
	s_endpgm
	.section	.rodata,"a",@progbits
	.p2align	6, 0x0
	.amdhsa_kernel _ZN9rocsparseL27dense_transpose_back_kernelILj32ELj8ElfEEvT1_S1_PKT2_lPS2_l
		.amdhsa_group_segment_fixed_size 4096
		.amdhsa_private_segment_fixed_size 0
		.amdhsa_kernarg_size 48
		.amdhsa_user_sgpr_count 6
		.amdhsa_user_sgpr_private_segment_buffer 1
		.amdhsa_user_sgpr_dispatch_ptr 0
		.amdhsa_user_sgpr_queue_ptr 0
		.amdhsa_user_sgpr_kernarg_segment_ptr 1
		.amdhsa_user_sgpr_dispatch_id 0
		.amdhsa_user_sgpr_flat_scratch_init 0
		.amdhsa_user_sgpr_private_segment_size 0
		.amdhsa_uses_dynamic_stack 0
		.amdhsa_system_sgpr_private_segment_wavefront_offset 0
		.amdhsa_system_sgpr_workgroup_id_x 1
		.amdhsa_system_sgpr_workgroup_id_y 0
		.amdhsa_system_sgpr_workgroup_id_z 0
		.amdhsa_system_sgpr_workgroup_info 0
		.amdhsa_system_vgpr_workitem_id 0
		.amdhsa_next_free_vgpr 27
		.amdhsa_next_free_sgpr 21
		.amdhsa_reserve_vcc 1
		.amdhsa_reserve_flat_scratch 0
		.amdhsa_float_round_mode_32 0
		.amdhsa_float_round_mode_16_64 0
		.amdhsa_float_denorm_mode_32 3
		.amdhsa_float_denorm_mode_16_64 3
		.amdhsa_dx10_clamp 1
		.amdhsa_ieee_mode 1
		.amdhsa_fp16_overflow 0
		.amdhsa_exception_fp_ieee_invalid_op 0
		.amdhsa_exception_fp_denorm_src 0
		.amdhsa_exception_fp_ieee_div_zero 0
		.amdhsa_exception_fp_ieee_overflow 0
		.amdhsa_exception_fp_ieee_underflow 0
		.amdhsa_exception_fp_ieee_inexact 0
		.amdhsa_exception_int_div_zero 0
	.end_amdhsa_kernel
	.section	.text._ZN9rocsparseL27dense_transpose_back_kernelILj32ELj8ElfEEvT1_S1_PKT2_lPS2_l,"axG",@progbits,_ZN9rocsparseL27dense_transpose_back_kernelILj32ELj8ElfEEvT1_S1_PKT2_lPS2_l,comdat
.Lfunc_end20:
	.size	_ZN9rocsparseL27dense_transpose_back_kernelILj32ELj8ElfEEvT1_S1_PKT2_lPS2_l, .Lfunc_end20-_ZN9rocsparseL27dense_transpose_back_kernelILj32ELj8ElfEEvT1_S1_PKT2_lPS2_l
                                        ; -- End function
	.set _ZN9rocsparseL27dense_transpose_back_kernelILj32ELj8ElfEEvT1_S1_PKT2_lPS2_l.num_vgpr, 27
	.set _ZN9rocsparseL27dense_transpose_back_kernelILj32ELj8ElfEEvT1_S1_PKT2_lPS2_l.num_agpr, 0
	.set _ZN9rocsparseL27dense_transpose_back_kernelILj32ELj8ElfEEvT1_S1_PKT2_lPS2_l.numbered_sgpr, 21
	.set _ZN9rocsparseL27dense_transpose_back_kernelILj32ELj8ElfEEvT1_S1_PKT2_lPS2_l.num_named_barrier, 0
	.set _ZN9rocsparseL27dense_transpose_back_kernelILj32ELj8ElfEEvT1_S1_PKT2_lPS2_l.private_seg_size, 0
	.set _ZN9rocsparseL27dense_transpose_back_kernelILj32ELj8ElfEEvT1_S1_PKT2_lPS2_l.uses_vcc, 1
	.set _ZN9rocsparseL27dense_transpose_back_kernelILj32ELj8ElfEEvT1_S1_PKT2_lPS2_l.uses_flat_scratch, 0
	.set _ZN9rocsparseL27dense_transpose_back_kernelILj32ELj8ElfEEvT1_S1_PKT2_lPS2_l.has_dyn_sized_stack, 0
	.set _ZN9rocsparseL27dense_transpose_back_kernelILj32ELj8ElfEEvT1_S1_PKT2_lPS2_l.has_recursion, 0
	.set _ZN9rocsparseL27dense_transpose_back_kernelILj32ELj8ElfEEvT1_S1_PKT2_lPS2_l.has_indirect_call, 0
	.section	.AMDGPU.csdata,"",@progbits
; Kernel info:
; codeLenInByte = 1116
; TotalNumSgprs: 25
; NumVgprs: 27
; ScratchSize: 0
; MemoryBound: 0
; FloatMode: 240
; IeeeMode: 1
; LDSByteSize: 4096 bytes/workgroup (compile time only)
; SGPRBlocks: 3
; VGPRBlocks: 6
; NumSGPRsForWavesPerEU: 25
; NumVGPRsForWavesPerEU: 27
; Occupancy: 9
; WaveLimiterHint : 0
; COMPUTE_PGM_RSRC2:SCRATCH_EN: 0
; COMPUTE_PGM_RSRC2:USER_SGPR: 6
; COMPUTE_PGM_RSRC2:TRAP_HANDLER: 0
; COMPUTE_PGM_RSRC2:TGID_X_EN: 1
; COMPUTE_PGM_RSRC2:TGID_Y_EN: 0
; COMPUTE_PGM_RSRC2:TGID_Z_EN: 0
; COMPUTE_PGM_RSRC2:TIDIG_COMP_CNT: 0
	.section	.text._ZN9rocsparseL27dense_transpose_back_kernelILj32ELj8EldEEvT1_S1_PKT2_lPS2_l,"axG",@progbits,_ZN9rocsparseL27dense_transpose_back_kernelILj32ELj8EldEEvT1_S1_PKT2_lPS2_l,comdat
	.globl	_ZN9rocsparseL27dense_transpose_back_kernelILj32ELj8EldEEvT1_S1_PKT2_lPS2_l ; -- Begin function _ZN9rocsparseL27dense_transpose_back_kernelILj32ELj8EldEEvT1_S1_PKT2_lPS2_l
	.p2align	8
	.type	_ZN9rocsparseL27dense_transpose_back_kernelILj32ELj8EldEEvT1_S1_PKT2_lPS2_l,@function
_ZN9rocsparseL27dense_transpose_back_kernelILj32ELj8EldEEvT1_S1_PKT2_lPS2_l: ; @_ZN9rocsparseL27dense_transpose_back_kernelILj32ELj8EldEEvT1_S1_PKT2_lPS2_l
; %bb.0:
	s_load_dwordx8 s[12:19], s[4:5], 0x0
	s_waitcnt lgkmcnt(0)
	v_cmp_lt_i64_e64 s[0:1], s[14:15], 1
	s_and_b64 vcc, exec, s[0:1]
	s_cbranch_vccnz .LBB21_20
; %bb.1:
	s_load_dwordx4 s[20:23], s[4:5], 0x20
	v_lshrrev_b32_e32 v14, 5, v0
	s_lshl_b32 s0, s6, 5
	v_or_b32_e32 v2, s0, v14
	v_mov_b32_e32 v3, 0
	s_waitcnt lgkmcnt(0)
	v_mad_u64_u32 v[8:9], s[8:9], s22, v14, 0
	v_and_b32_e32 v15, 31, v0
	v_lshlrev_b32_e32 v4, 3, v14
	v_mov_b32_e32 v1, v3
	v_lshl_or_b32 v17, v15, 8, v4
	v_cmp_le_i64_e64 s[2:3], s[12:13], v[2:3]
	v_or_b32_e32 v4, 8, v2
	v_mov_b32_e32 v5, v3
	v_mov_b32_e32 v6, v3
	;; [unrolled: 1-line block ×4, first 2 shown]
	v_mad_u64_u32 v[9:10], s[10:11], s23, v14, v[3:4]
	v_or_b32_e32 v12, 24, v14
	v_mad_u64_u32 v[10:11], s[10:11], s22, v12, 0
	v_cmp_le_i64_e64 s[4:5], s[12:13], v[4:5]
	v_or_b32_e32 v5, 16, v2
	v_mov_b32_e32 v3, v11
	v_cmp_le_i64_e64 s[6:7], s[12:13], v[5:6]
	v_or_b32_e32 v6, 24, v2
	v_mad_u64_u32 v[11:12], s[10:11], s23, v12, v[3:4]
	v_cmp_le_i64_e64 s[8:9], s[12:13], v[6:7]
	v_lshlrev_b64 v[7:8], 3, v[8:9]
	v_mov_b32_e32 v9, s21
	v_add_co_u32_e32 v18, vcc, s20, v7
	v_addc_co_u32_e32 v19, vcc, v9, v8, vcc
	v_lshlrev_b64 v[7:8], 3, v[10:11]
	v_or_b32_e32 v11, 16, v14
	v_mad_u64_u32 v[9:10], s[10:11], s22, v11, 0
	v_mov_b32_e32 v3, s21
	v_add_co_u32_e32 v20, vcc, s20, v7
	v_addc_co_u32_e32 v21, vcc, v3, v8, vcc
	v_mov_b32_e32 v3, v10
	v_mad_u64_u32 v[7:8], s[10:11], s23, v11, v[3:4]
	v_or_b32_e32 v22, 8, v14
	v_mad_u64_u32 v[11:12], s[10:11], s22, v22, 0
	v_mov_b32_e32 v10, v7
	v_lshlrev_b64 v[7:8], 3, v[9:10]
	v_mov_b32_e32 v3, v12
	v_mov_b32_e32 v23, s21
	v_mad_u64_u32 v[9:10], s[10:11], s23, v22, v[3:4]
	v_add_co_u32_e32 v22, vcc, s20, v7
	v_addc_co_u32_e32 v23, vcc, v23, v8, vcc
	v_mad_u64_u32 v[7:8], s[10:11], s18, v2, 0
	v_mov_b32_e32 v12, v9
	v_lshlrev_b64 v[9:10], 3, v[11:12]
	v_mov_b32_e32 v3, v8
	v_mad_u64_u32 v[2:3], s[10:11], s19, v2, v[3:4]
	v_mov_b32_e32 v11, s21
	v_add_co_u32_e32 v24, vcc, s20, v9
	v_mov_b32_e32 v8, v2
	v_lshlrev_b64 v[2:3], 3, v[7:8]
	v_mad_u64_u32 v[7:8], s[10:11], s18, v4, 0
	v_lshlrev_b32_e32 v13, 3, v15
	v_addc_co_u32_e32 v25, vcc, v11, v10, vcc
	v_add_co_u32_e32 v10, vcc, v2, v13
	v_addc_co_u32_e32 v3, vcc, 0, v3, vcc
	v_mov_b32_e32 v2, v8
	v_mad_u64_u32 v[8:9], s[10:11], s19, v4, v[2:3]
	v_add_co_u32_e32 v2, vcc, s16, v10
	v_mad_u64_u32 v[9:10], s[10:11], s18, v5, 0
	v_mov_b32_e32 v11, s17
	v_lshlrev_b64 v[7:8], 3, v[7:8]
	v_addc_co_u32_e32 v3, vcc, v11, v3, vcc
	v_add_co_u32_e32 v11, vcc, v7, v13
	v_mov_b32_e32 v4, v10
	v_addc_co_u32_e32 v12, vcc, 0, v8, vcc
	v_mad_u64_u32 v[7:8], s[10:11], s19, v5, v[4:5]
	v_mov_b32_e32 v26, s17
	v_add_co_u32_e32 v4, vcc, s16, v11
	v_mov_b32_e32 v10, v7
	v_lshlrev_b64 v[7:8], 3, v[9:10]
	v_mad_u64_u32 v[9:10], s[10:11], s18, v6, 0
	v_addc_co_u32_e32 v5, vcc, v26, v12, vcc
	v_add_co_u32_e32 v12, vcc, v7, v13
	v_addc_co_u32_e32 v8, vcc, 0, v8, vcc
	v_mov_b32_e32 v7, v10
	v_mad_u64_u32 v[10:11], s[10:11], s19, v6, v[7:8]
	v_add_co_u32_e32 v6, vcc, s16, v12
	v_addc_co_u32_e32 v7, vcc, v26, v8, vcc
	v_lshlrev_b64 v[8:9], 3, v[9:10]
	v_or_b32_e32 v0, s0, v15
	v_add_co_u32_e32 v8, vcc, v8, v13
	v_addc_co_u32_e32 v9, vcc, 0, v9, vcc
	v_mov_b32_e32 v10, s17
	v_add_co_u32_e32 v8, vcc, s16, v8
	v_cmp_gt_i64_e64 s[0:1], s[12:13], v[0:1]
	v_lshlrev_b64 v[0:1], 3, v[0:1]
	s_lshl_b64 s[12:13], s[22:23], 8
	v_addc_co_u32_e32 v9, vcc, v10, v9, vcc
	v_mov_b32_e32 v10, s14
	v_lshl_or_b32 v16, v14, 8, v13
	s_mov_b64 s[16:17], 0
	v_mov_b32_e32 v26, s13
	s_movk_i32 s13, 0x100
	v_mov_b32_e32 v11, s15
	s_branch .LBB21_3
.LBB21_2:                               ;   in Loop: Header=BB21_3 Depth=1
	s_or_b64 exec, exec, s[10:11]
	v_add_co_u32_e32 v18, vcc, s12, v18
	v_addc_co_u32_e32 v19, vcc, v19, v26, vcc
	v_add_co_u32_e32 v20, vcc, s12, v20
	v_addc_co_u32_e32 v21, vcc, v21, v26, vcc
	;; [unrolled: 2-line block ×6, first 2 shown]
	s_add_u32 s16, s16, 32
	v_add_co_u32_e32 v6, vcc, 0x100, v6
	s_addc_u32 s17, s17, 0
	v_addc_co_u32_e32 v7, vcc, 0, v7, vcc
	v_add_co_u32_e32 v8, vcc, 0x100, v8
	v_cmp_lt_i64_e64 s[10:11], s[16:17], v[10:11]
	v_addc_co_u32_e32 v9, vcc, 0, v9, vcc
	s_and_b64 vcc, exec, s[10:11]
	s_cbranch_vccz .LBB21_20
.LBB21_3:                               ; =>This Inner Loop Header: Depth=1
	v_mov_b32_e32 v13, s17
	v_add_co_u32_e32 v12, vcc, s16, v15
	v_addc_co_u32_e32 v13, vcc, 0, v13, vcc
	v_cmp_le_i64_e32 vcc, s[14:15], v[12:13]
	s_nor_b64 s[18:19], vcc, s[2:3]
	s_waitcnt vmcnt(0)
	s_barrier
	s_and_saveexec_b64 s[10:11], s[18:19]
	s_cbranch_execnz .LBB21_17
; %bb.4:                                ;   in Loop: Header=BB21_3 Depth=1
	s_or_b64 exec, exec, s[10:11]
	s_nor_b64 s[18:19], vcc, s[4:5]
	s_and_saveexec_b64 s[10:11], s[18:19]
	s_cbranch_execnz .LBB21_18
.LBB21_5:                               ;   in Loop: Header=BB21_3 Depth=1
	s_or_b64 exec, exec, s[10:11]
	s_nor_b64 s[18:19], vcc, s[6:7]
	s_and_saveexec_b64 s[10:11], s[18:19]
	s_cbranch_execnz .LBB21_19
.LBB21_6:                               ;   in Loop: Header=BB21_3 Depth=1
	s_or_b64 exec, exec, s[10:11]
	s_nor_b64 s[18:19], vcc, s[8:9]
	s_and_saveexec_b64 s[10:11], s[18:19]
	s_cbranch_execz .LBB21_8
.LBB21_7:                               ;   in Loop: Header=BB21_3 Depth=1
	global_load_dwordx2 v[12:13], v[8:9], off
	s_waitcnt vmcnt(0)
	ds_write_b64 v16, v[12:13] offset:6144
.LBB21_8:                               ;   in Loop: Header=BB21_3 Depth=1
	s_or_b64 exec, exec, s[10:11]
	v_mov_b32_e32 v13, s17
	v_add_co_u32_e32 v12, vcc, s16, v14
	v_addc_co_u32_e32 v13, vcc, 0, v13, vcc
	v_cmp_gt_i64_e32 vcc, s[14:15], v[12:13]
	s_waitcnt lgkmcnt(0)
	s_and_b64 s[18:19], s[0:1], vcc
	s_barrier
	s_and_saveexec_b64 s[10:11], s[18:19]
	s_cbranch_execz .LBB21_10
; %bb.9:                                ;   in Loop: Header=BB21_3 Depth=1
	ds_read_b64 v[27:28], v17
	v_add_co_u32_e32 v29, vcc, v18, v0
	v_addc_co_u32_e32 v30, vcc, v19, v1, vcc
	s_waitcnt lgkmcnt(0)
	global_store_dwordx2 v[29:30], v[27:28], off
.LBB21_10:                              ;   in Loop: Header=BB21_3 Depth=1
	s_or_b64 exec, exec, s[10:11]
	s_and_saveexec_b64 s[10:11], s[0:1]
	s_cbranch_execz .LBB21_2
; %bb.11:                               ;   in Loop: Header=BB21_3 Depth=1
	v_add_co_u32_e32 v27, vcc, 8, v12
	v_addc_co_u32_e32 v28, vcc, 0, v13, vcc
	v_cmp_gt_i64_e32 vcc, s[14:15], v[27:28]
	s_and_saveexec_b64 s[18:19], vcc
	s_cbranch_execz .LBB21_13
; %bb.12:                               ;   in Loop: Header=BB21_3 Depth=1
	ds_read_b64 v[27:28], v17 offset:64
	v_add_co_u32_e32 v29, vcc, v24, v0
	v_addc_co_u32_e32 v30, vcc, v25, v1, vcc
	s_waitcnt lgkmcnt(0)
	global_store_dwordx2 v[29:30], v[27:28], off
.LBB21_13:                              ;   in Loop: Header=BB21_3 Depth=1
	s_or_b64 exec, exec, s[18:19]
	v_add_co_u32_e32 v27, vcc, 16, v12
	v_addc_co_u32_e32 v28, vcc, 0, v13, vcc
	v_cmp_gt_i64_e32 vcc, s[14:15], v[27:28]
	s_and_saveexec_b64 s[18:19], vcc
	s_cbranch_execz .LBB21_15
; %bb.14:                               ;   in Loop: Header=BB21_3 Depth=1
	ds_read_b64 v[27:28], v17 offset:128
	v_add_co_u32_e32 v29, vcc, v22, v0
	v_addc_co_u32_e32 v30, vcc, v23, v1, vcc
	s_waitcnt lgkmcnt(0)
	global_store_dwordx2 v[29:30], v[27:28], off
.LBB21_15:                              ;   in Loop: Header=BB21_3 Depth=1
	s_or_b64 exec, exec, s[18:19]
	v_add_co_u32_e32 v12, vcc, 24, v12
	v_addc_co_u32_e32 v13, vcc, 0, v13, vcc
	v_cmp_gt_i64_e32 vcc, s[14:15], v[12:13]
	s_and_b64 exec, exec, vcc
	s_cbranch_execz .LBB21_2
; %bb.16:                               ;   in Loop: Header=BB21_3 Depth=1
	ds_read_b64 v[12:13], v17 offset:192
	v_add_co_u32_e32 v27, vcc, v20, v0
	v_addc_co_u32_e32 v28, vcc, v21, v1, vcc
	s_waitcnt lgkmcnt(0)
	global_store_dwordx2 v[27:28], v[12:13], off
	s_branch .LBB21_2
.LBB21_17:                              ;   in Loop: Header=BB21_3 Depth=1
	global_load_dwordx2 v[12:13], v[2:3], off
	s_waitcnt vmcnt(0)
	ds_write_b64 v16, v[12:13]
	s_or_b64 exec, exec, s[10:11]
	s_nor_b64 s[18:19], vcc, s[4:5]
	s_and_saveexec_b64 s[10:11], s[18:19]
	s_cbranch_execz .LBB21_5
.LBB21_18:                              ;   in Loop: Header=BB21_3 Depth=1
	global_load_dwordx2 v[12:13], v[4:5], off
	s_waitcnt vmcnt(0)
	ds_write_b64 v16, v[12:13] offset:2048
	s_or_b64 exec, exec, s[10:11]
	s_nor_b64 s[18:19], vcc, s[6:7]
	s_and_saveexec_b64 s[10:11], s[18:19]
	s_cbranch_execz .LBB21_6
.LBB21_19:                              ;   in Loop: Header=BB21_3 Depth=1
	global_load_dwordx2 v[12:13], v[6:7], off
	s_waitcnt vmcnt(0)
	ds_write_b64 v16, v[12:13] offset:4096
	s_or_b64 exec, exec, s[10:11]
	s_nor_b64 s[18:19], vcc, s[8:9]
	s_and_saveexec_b64 s[10:11], s[18:19]
	s_cbranch_execnz .LBB21_7
	s_branch .LBB21_8
.LBB21_20:
	s_endpgm
	.section	.rodata,"a",@progbits
	.p2align	6, 0x0
	.amdhsa_kernel _ZN9rocsparseL27dense_transpose_back_kernelILj32ELj8EldEEvT1_S1_PKT2_lPS2_l
		.amdhsa_group_segment_fixed_size 8192
		.amdhsa_private_segment_fixed_size 0
		.amdhsa_kernarg_size 48
		.amdhsa_user_sgpr_count 6
		.amdhsa_user_sgpr_private_segment_buffer 1
		.amdhsa_user_sgpr_dispatch_ptr 0
		.amdhsa_user_sgpr_queue_ptr 0
		.amdhsa_user_sgpr_kernarg_segment_ptr 1
		.amdhsa_user_sgpr_dispatch_id 0
		.amdhsa_user_sgpr_flat_scratch_init 0
		.amdhsa_user_sgpr_private_segment_size 0
		.amdhsa_uses_dynamic_stack 0
		.amdhsa_system_sgpr_private_segment_wavefront_offset 0
		.amdhsa_system_sgpr_workgroup_id_x 1
		.amdhsa_system_sgpr_workgroup_id_y 0
		.amdhsa_system_sgpr_workgroup_id_z 0
		.amdhsa_system_sgpr_workgroup_info 0
		.amdhsa_system_vgpr_workitem_id 0
		.amdhsa_next_free_vgpr 31
		.amdhsa_next_free_sgpr 61
		.amdhsa_reserve_vcc 1
		.amdhsa_reserve_flat_scratch 0
		.amdhsa_float_round_mode_32 0
		.amdhsa_float_round_mode_16_64 0
		.amdhsa_float_denorm_mode_32 3
		.amdhsa_float_denorm_mode_16_64 3
		.amdhsa_dx10_clamp 1
		.amdhsa_ieee_mode 1
		.amdhsa_fp16_overflow 0
		.amdhsa_exception_fp_ieee_invalid_op 0
		.amdhsa_exception_fp_denorm_src 0
		.amdhsa_exception_fp_ieee_div_zero 0
		.amdhsa_exception_fp_ieee_overflow 0
		.amdhsa_exception_fp_ieee_underflow 0
		.amdhsa_exception_fp_ieee_inexact 0
		.amdhsa_exception_int_div_zero 0
	.end_amdhsa_kernel
	.section	.text._ZN9rocsparseL27dense_transpose_back_kernelILj32ELj8EldEEvT1_S1_PKT2_lPS2_l,"axG",@progbits,_ZN9rocsparseL27dense_transpose_back_kernelILj32ELj8EldEEvT1_S1_PKT2_lPS2_l,comdat
.Lfunc_end21:
	.size	_ZN9rocsparseL27dense_transpose_back_kernelILj32ELj8EldEEvT1_S1_PKT2_lPS2_l, .Lfunc_end21-_ZN9rocsparseL27dense_transpose_back_kernelILj32ELj8EldEEvT1_S1_PKT2_lPS2_l
                                        ; -- End function
	.set _ZN9rocsparseL27dense_transpose_back_kernelILj32ELj8EldEEvT1_S1_PKT2_lPS2_l.num_vgpr, 31
	.set _ZN9rocsparseL27dense_transpose_back_kernelILj32ELj8EldEEvT1_S1_PKT2_lPS2_l.num_agpr, 0
	.set _ZN9rocsparseL27dense_transpose_back_kernelILj32ELj8EldEEvT1_S1_PKT2_lPS2_l.numbered_sgpr, 24
	.set _ZN9rocsparseL27dense_transpose_back_kernelILj32ELj8EldEEvT1_S1_PKT2_lPS2_l.num_named_barrier, 0
	.set _ZN9rocsparseL27dense_transpose_back_kernelILj32ELj8EldEEvT1_S1_PKT2_lPS2_l.private_seg_size, 0
	.set _ZN9rocsparseL27dense_transpose_back_kernelILj32ELj8EldEEvT1_S1_PKT2_lPS2_l.uses_vcc, 1
	.set _ZN9rocsparseL27dense_transpose_back_kernelILj32ELj8EldEEvT1_S1_PKT2_lPS2_l.uses_flat_scratch, 0
	.set _ZN9rocsparseL27dense_transpose_back_kernelILj32ELj8EldEEvT1_S1_PKT2_lPS2_l.has_dyn_sized_stack, 0
	.set _ZN9rocsparseL27dense_transpose_back_kernelILj32ELj8EldEEvT1_S1_PKT2_lPS2_l.has_recursion, 0
	.set _ZN9rocsparseL27dense_transpose_back_kernelILj32ELj8EldEEvT1_S1_PKT2_lPS2_l.has_indirect_call, 0
	.section	.AMDGPU.csdata,"",@progbits
; Kernel info:
; codeLenInByte = 1124
; TotalNumSgprs: 28
; NumVgprs: 31
; ScratchSize: 0
; MemoryBound: 1
; FloatMode: 240
; IeeeMode: 1
; LDSByteSize: 8192 bytes/workgroup (compile time only)
; SGPRBlocks: 8
; VGPRBlocks: 7
; NumSGPRsForWavesPerEU: 65
; NumVGPRsForWavesPerEU: 31
; Occupancy: 8
; WaveLimiterHint : 0
; COMPUTE_PGM_RSRC2:SCRATCH_EN: 0
; COMPUTE_PGM_RSRC2:USER_SGPR: 6
; COMPUTE_PGM_RSRC2:TRAP_HANDLER: 0
; COMPUTE_PGM_RSRC2:TGID_X_EN: 1
; COMPUTE_PGM_RSRC2:TGID_Y_EN: 0
; COMPUTE_PGM_RSRC2:TGID_Z_EN: 0
; COMPUTE_PGM_RSRC2:TIDIG_COMP_CNT: 0
	.section	.text._ZN9rocsparseL27dense_transpose_back_kernelILj32ELj8El21rocsparse_complex_numIfEEEvT1_S3_PKT2_lPS4_l,"axG",@progbits,_ZN9rocsparseL27dense_transpose_back_kernelILj32ELj8El21rocsparse_complex_numIfEEEvT1_S3_PKT2_lPS4_l,comdat
	.globl	_ZN9rocsparseL27dense_transpose_back_kernelILj32ELj8El21rocsparse_complex_numIfEEEvT1_S3_PKT2_lPS4_l ; -- Begin function _ZN9rocsparseL27dense_transpose_back_kernelILj32ELj8El21rocsparse_complex_numIfEEEvT1_S3_PKT2_lPS4_l
	.p2align	8
	.type	_ZN9rocsparseL27dense_transpose_back_kernelILj32ELj8El21rocsparse_complex_numIfEEEvT1_S3_PKT2_lPS4_l,@function
_ZN9rocsparseL27dense_transpose_back_kernelILj32ELj8El21rocsparse_complex_numIfEEEvT1_S3_PKT2_lPS4_l: ; @_ZN9rocsparseL27dense_transpose_back_kernelILj32ELj8El21rocsparse_complex_numIfEEEvT1_S3_PKT2_lPS4_l
; %bb.0:
	s_load_dwordx8 s[12:19], s[4:5], 0x0
	s_waitcnt lgkmcnt(0)
	v_cmp_lt_i64_e64 s[0:1], s[14:15], 1
	s_and_b64 vcc, exec, s[0:1]
	s_cbranch_vccnz .LBB22_20
; %bb.1:
	s_load_dwordx4 s[20:23], s[4:5], 0x20
	v_lshrrev_b32_e32 v14, 5, v0
	s_lshl_b32 s0, s6, 5
	v_or_b32_e32 v2, s0, v14
	v_mov_b32_e32 v3, 0
	s_waitcnt lgkmcnt(0)
	v_mad_u64_u32 v[8:9], s[8:9], s22, v14, 0
	v_and_b32_e32 v15, 31, v0
	v_lshlrev_b32_e32 v4, 3, v14
	v_mov_b32_e32 v1, v3
	v_lshl_or_b32 v17, v15, 8, v4
	v_cmp_le_i64_e64 s[2:3], s[12:13], v[2:3]
	v_or_b32_e32 v4, 8, v2
	v_mov_b32_e32 v5, v3
	v_mov_b32_e32 v6, v3
	v_mov_b32_e32 v7, v3
	v_mov_b32_e32 v3, v9
	v_mad_u64_u32 v[9:10], s[10:11], s23, v14, v[3:4]
	v_or_b32_e32 v12, 24, v14
	v_mad_u64_u32 v[10:11], s[10:11], s22, v12, 0
	v_cmp_le_i64_e64 s[4:5], s[12:13], v[4:5]
	v_or_b32_e32 v5, 16, v2
	v_mov_b32_e32 v3, v11
	v_cmp_le_i64_e64 s[6:7], s[12:13], v[5:6]
	v_or_b32_e32 v6, 24, v2
	v_mad_u64_u32 v[11:12], s[10:11], s23, v12, v[3:4]
	v_cmp_le_i64_e64 s[8:9], s[12:13], v[6:7]
	v_lshlrev_b64 v[7:8], 3, v[8:9]
	v_mov_b32_e32 v9, s21
	v_add_co_u32_e32 v18, vcc, s20, v7
	v_addc_co_u32_e32 v19, vcc, v9, v8, vcc
	v_lshlrev_b64 v[7:8], 3, v[10:11]
	v_or_b32_e32 v11, 16, v14
	v_mad_u64_u32 v[9:10], s[10:11], s22, v11, 0
	v_mov_b32_e32 v3, s21
	v_add_co_u32_e32 v20, vcc, s20, v7
	v_addc_co_u32_e32 v21, vcc, v3, v8, vcc
	v_mov_b32_e32 v3, v10
	v_mad_u64_u32 v[7:8], s[10:11], s23, v11, v[3:4]
	v_or_b32_e32 v22, 8, v14
	v_mad_u64_u32 v[11:12], s[10:11], s22, v22, 0
	v_mov_b32_e32 v10, v7
	v_lshlrev_b64 v[7:8], 3, v[9:10]
	v_mov_b32_e32 v3, v12
	v_mov_b32_e32 v23, s21
	v_mad_u64_u32 v[9:10], s[10:11], s23, v22, v[3:4]
	v_add_co_u32_e32 v22, vcc, s20, v7
	v_addc_co_u32_e32 v23, vcc, v23, v8, vcc
	v_mad_u64_u32 v[7:8], s[10:11], s18, v2, 0
	v_mov_b32_e32 v12, v9
	v_lshlrev_b64 v[9:10], 3, v[11:12]
	v_mov_b32_e32 v3, v8
	v_mad_u64_u32 v[2:3], s[10:11], s19, v2, v[3:4]
	v_mov_b32_e32 v11, s21
	v_add_co_u32_e32 v24, vcc, s20, v9
	v_mov_b32_e32 v8, v2
	v_lshlrev_b64 v[2:3], 3, v[7:8]
	v_mad_u64_u32 v[7:8], s[10:11], s18, v4, 0
	v_lshlrev_b32_e32 v13, 3, v15
	v_addc_co_u32_e32 v25, vcc, v11, v10, vcc
	v_add_co_u32_e32 v10, vcc, v2, v13
	v_addc_co_u32_e32 v3, vcc, 0, v3, vcc
	v_mov_b32_e32 v2, v8
	v_mad_u64_u32 v[8:9], s[10:11], s19, v4, v[2:3]
	v_add_co_u32_e32 v2, vcc, s16, v10
	v_mad_u64_u32 v[9:10], s[10:11], s18, v5, 0
	v_mov_b32_e32 v11, s17
	v_lshlrev_b64 v[7:8], 3, v[7:8]
	v_addc_co_u32_e32 v3, vcc, v11, v3, vcc
	v_add_co_u32_e32 v11, vcc, v7, v13
	v_mov_b32_e32 v4, v10
	v_addc_co_u32_e32 v12, vcc, 0, v8, vcc
	v_mad_u64_u32 v[7:8], s[10:11], s19, v5, v[4:5]
	v_mov_b32_e32 v26, s17
	v_add_co_u32_e32 v4, vcc, s16, v11
	v_mov_b32_e32 v10, v7
	v_lshlrev_b64 v[7:8], 3, v[9:10]
	v_mad_u64_u32 v[9:10], s[10:11], s18, v6, 0
	v_addc_co_u32_e32 v5, vcc, v26, v12, vcc
	v_add_co_u32_e32 v12, vcc, v7, v13
	v_addc_co_u32_e32 v8, vcc, 0, v8, vcc
	v_mov_b32_e32 v7, v10
	v_mad_u64_u32 v[10:11], s[10:11], s19, v6, v[7:8]
	v_add_co_u32_e32 v6, vcc, s16, v12
	v_addc_co_u32_e32 v7, vcc, v26, v8, vcc
	v_lshlrev_b64 v[8:9], 3, v[9:10]
	v_or_b32_e32 v0, s0, v15
	v_add_co_u32_e32 v8, vcc, v8, v13
	v_addc_co_u32_e32 v9, vcc, 0, v9, vcc
	v_mov_b32_e32 v10, s17
	v_add_co_u32_e32 v8, vcc, s16, v8
	v_cmp_gt_i64_e64 s[0:1], s[12:13], v[0:1]
	v_lshlrev_b64 v[0:1], 3, v[0:1]
	s_lshl_b64 s[12:13], s[22:23], 8
	v_addc_co_u32_e32 v9, vcc, v10, v9, vcc
	v_mov_b32_e32 v10, s14
	v_lshl_or_b32 v16, v14, 8, v13
	s_mov_b64 s[16:17], 0
	v_mov_b32_e32 v26, s13
	s_movk_i32 s13, 0x100
	v_mov_b32_e32 v11, s15
	s_branch .LBB22_3
.LBB22_2:                               ;   in Loop: Header=BB22_3 Depth=1
	s_or_b64 exec, exec, s[10:11]
	v_add_co_u32_e32 v18, vcc, s12, v18
	v_addc_co_u32_e32 v19, vcc, v19, v26, vcc
	v_add_co_u32_e32 v20, vcc, s12, v20
	v_addc_co_u32_e32 v21, vcc, v21, v26, vcc
	;; [unrolled: 2-line block ×6, first 2 shown]
	s_add_u32 s16, s16, 32
	v_add_co_u32_e32 v6, vcc, 0x100, v6
	s_addc_u32 s17, s17, 0
	v_addc_co_u32_e32 v7, vcc, 0, v7, vcc
	v_add_co_u32_e32 v8, vcc, 0x100, v8
	v_cmp_lt_i64_e64 s[10:11], s[16:17], v[10:11]
	v_addc_co_u32_e32 v9, vcc, 0, v9, vcc
	s_and_b64 vcc, exec, s[10:11]
	s_cbranch_vccz .LBB22_20
.LBB22_3:                               ; =>This Inner Loop Header: Depth=1
	v_mov_b32_e32 v13, s17
	v_add_co_u32_e32 v12, vcc, s16, v15
	v_addc_co_u32_e32 v13, vcc, 0, v13, vcc
	v_cmp_le_i64_e32 vcc, s[14:15], v[12:13]
	s_nor_b64 s[18:19], vcc, s[2:3]
	s_waitcnt vmcnt(0)
	s_barrier
	s_and_saveexec_b64 s[10:11], s[18:19]
	s_cbranch_execnz .LBB22_17
; %bb.4:                                ;   in Loop: Header=BB22_3 Depth=1
	s_or_b64 exec, exec, s[10:11]
	s_nor_b64 s[18:19], vcc, s[4:5]
	s_and_saveexec_b64 s[10:11], s[18:19]
	s_cbranch_execnz .LBB22_18
.LBB22_5:                               ;   in Loop: Header=BB22_3 Depth=1
	s_or_b64 exec, exec, s[10:11]
	s_nor_b64 s[18:19], vcc, s[6:7]
	s_and_saveexec_b64 s[10:11], s[18:19]
	s_cbranch_execnz .LBB22_19
.LBB22_6:                               ;   in Loop: Header=BB22_3 Depth=1
	s_or_b64 exec, exec, s[10:11]
	s_nor_b64 s[18:19], vcc, s[8:9]
	s_and_saveexec_b64 s[10:11], s[18:19]
	s_cbranch_execz .LBB22_8
.LBB22_7:                               ;   in Loop: Header=BB22_3 Depth=1
	global_load_dwordx2 v[12:13], v[8:9], off
	s_waitcnt vmcnt(0)
	ds_write_b64 v16, v[12:13] offset:6144
.LBB22_8:                               ;   in Loop: Header=BB22_3 Depth=1
	s_or_b64 exec, exec, s[10:11]
	v_mov_b32_e32 v13, s17
	v_add_co_u32_e32 v12, vcc, s16, v14
	v_addc_co_u32_e32 v13, vcc, 0, v13, vcc
	v_cmp_gt_i64_e32 vcc, s[14:15], v[12:13]
	s_waitcnt lgkmcnt(0)
	s_and_b64 s[18:19], s[0:1], vcc
	s_barrier
	s_and_saveexec_b64 s[10:11], s[18:19]
	s_cbranch_execz .LBB22_10
; %bb.9:                                ;   in Loop: Header=BB22_3 Depth=1
	ds_read_b64 v[27:28], v17
	v_add_co_u32_e32 v29, vcc, v18, v0
	v_addc_co_u32_e32 v30, vcc, v19, v1, vcc
	s_waitcnt lgkmcnt(0)
	global_store_dwordx2 v[29:30], v[27:28], off
.LBB22_10:                              ;   in Loop: Header=BB22_3 Depth=1
	s_or_b64 exec, exec, s[10:11]
	s_and_saveexec_b64 s[10:11], s[0:1]
	s_cbranch_execz .LBB22_2
; %bb.11:                               ;   in Loop: Header=BB22_3 Depth=1
	v_add_co_u32_e32 v27, vcc, 8, v12
	v_addc_co_u32_e32 v28, vcc, 0, v13, vcc
	v_cmp_gt_i64_e32 vcc, s[14:15], v[27:28]
	s_and_saveexec_b64 s[18:19], vcc
	s_cbranch_execz .LBB22_13
; %bb.12:                               ;   in Loop: Header=BB22_3 Depth=1
	ds_read_b64 v[27:28], v17 offset:64
	v_add_co_u32_e32 v29, vcc, v24, v0
	v_addc_co_u32_e32 v30, vcc, v25, v1, vcc
	s_waitcnt lgkmcnt(0)
	global_store_dwordx2 v[29:30], v[27:28], off
.LBB22_13:                              ;   in Loop: Header=BB22_3 Depth=1
	s_or_b64 exec, exec, s[18:19]
	v_add_co_u32_e32 v27, vcc, 16, v12
	v_addc_co_u32_e32 v28, vcc, 0, v13, vcc
	v_cmp_gt_i64_e32 vcc, s[14:15], v[27:28]
	s_and_saveexec_b64 s[18:19], vcc
	s_cbranch_execz .LBB22_15
; %bb.14:                               ;   in Loop: Header=BB22_3 Depth=1
	ds_read_b64 v[27:28], v17 offset:128
	v_add_co_u32_e32 v29, vcc, v22, v0
	v_addc_co_u32_e32 v30, vcc, v23, v1, vcc
	s_waitcnt lgkmcnt(0)
	global_store_dwordx2 v[29:30], v[27:28], off
.LBB22_15:                              ;   in Loop: Header=BB22_3 Depth=1
	s_or_b64 exec, exec, s[18:19]
	v_add_co_u32_e32 v12, vcc, 24, v12
	v_addc_co_u32_e32 v13, vcc, 0, v13, vcc
	v_cmp_gt_i64_e32 vcc, s[14:15], v[12:13]
	s_and_b64 exec, exec, vcc
	s_cbranch_execz .LBB22_2
; %bb.16:                               ;   in Loop: Header=BB22_3 Depth=1
	ds_read_b64 v[12:13], v17 offset:192
	v_add_co_u32_e32 v27, vcc, v20, v0
	v_addc_co_u32_e32 v28, vcc, v21, v1, vcc
	s_waitcnt lgkmcnt(0)
	global_store_dwordx2 v[27:28], v[12:13], off
	s_branch .LBB22_2
.LBB22_17:                              ;   in Loop: Header=BB22_3 Depth=1
	global_load_dwordx2 v[12:13], v[2:3], off
	s_waitcnt vmcnt(0)
	ds_write_b64 v16, v[12:13]
	s_or_b64 exec, exec, s[10:11]
	s_nor_b64 s[18:19], vcc, s[4:5]
	s_and_saveexec_b64 s[10:11], s[18:19]
	s_cbranch_execz .LBB22_5
.LBB22_18:                              ;   in Loop: Header=BB22_3 Depth=1
	global_load_dwordx2 v[12:13], v[4:5], off
	s_waitcnt vmcnt(0)
	ds_write_b64 v16, v[12:13] offset:2048
	s_or_b64 exec, exec, s[10:11]
	s_nor_b64 s[18:19], vcc, s[6:7]
	s_and_saveexec_b64 s[10:11], s[18:19]
	s_cbranch_execz .LBB22_6
.LBB22_19:                              ;   in Loop: Header=BB22_3 Depth=1
	global_load_dwordx2 v[12:13], v[6:7], off
	s_waitcnt vmcnt(0)
	ds_write_b64 v16, v[12:13] offset:4096
	s_or_b64 exec, exec, s[10:11]
	s_nor_b64 s[18:19], vcc, s[8:9]
	s_and_saveexec_b64 s[10:11], s[18:19]
	s_cbranch_execnz .LBB22_7
	s_branch .LBB22_8
.LBB22_20:
	s_endpgm
	.section	.rodata,"a",@progbits
	.p2align	6, 0x0
	.amdhsa_kernel _ZN9rocsparseL27dense_transpose_back_kernelILj32ELj8El21rocsparse_complex_numIfEEEvT1_S3_PKT2_lPS4_l
		.amdhsa_group_segment_fixed_size 8192
		.amdhsa_private_segment_fixed_size 0
		.amdhsa_kernarg_size 48
		.amdhsa_user_sgpr_count 6
		.amdhsa_user_sgpr_private_segment_buffer 1
		.amdhsa_user_sgpr_dispatch_ptr 0
		.amdhsa_user_sgpr_queue_ptr 0
		.amdhsa_user_sgpr_kernarg_segment_ptr 1
		.amdhsa_user_sgpr_dispatch_id 0
		.amdhsa_user_sgpr_flat_scratch_init 0
		.amdhsa_user_sgpr_private_segment_size 0
		.amdhsa_uses_dynamic_stack 0
		.amdhsa_system_sgpr_private_segment_wavefront_offset 0
		.amdhsa_system_sgpr_workgroup_id_x 1
		.amdhsa_system_sgpr_workgroup_id_y 0
		.amdhsa_system_sgpr_workgroup_id_z 0
		.amdhsa_system_sgpr_workgroup_info 0
		.amdhsa_system_vgpr_workitem_id 0
		.amdhsa_next_free_vgpr 31
		.amdhsa_next_free_sgpr 61
		.amdhsa_reserve_vcc 1
		.amdhsa_reserve_flat_scratch 0
		.amdhsa_float_round_mode_32 0
		.amdhsa_float_round_mode_16_64 0
		.amdhsa_float_denorm_mode_32 3
		.amdhsa_float_denorm_mode_16_64 3
		.amdhsa_dx10_clamp 1
		.amdhsa_ieee_mode 1
		.amdhsa_fp16_overflow 0
		.amdhsa_exception_fp_ieee_invalid_op 0
		.amdhsa_exception_fp_denorm_src 0
		.amdhsa_exception_fp_ieee_div_zero 0
		.amdhsa_exception_fp_ieee_overflow 0
		.amdhsa_exception_fp_ieee_underflow 0
		.amdhsa_exception_fp_ieee_inexact 0
		.amdhsa_exception_int_div_zero 0
	.end_amdhsa_kernel
	.section	.text._ZN9rocsparseL27dense_transpose_back_kernelILj32ELj8El21rocsparse_complex_numIfEEEvT1_S3_PKT2_lPS4_l,"axG",@progbits,_ZN9rocsparseL27dense_transpose_back_kernelILj32ELj8El21rocsparse_complex_numIfEEEvT1_S3_PKT2_lPS4_l,comdat
.Lfunc_end22:
	.size	_ZN9rocsparseL27dense_transpose_back_kernelILj32ELj8El21rocsparse_complex_numIfEEEvT1_S3_PKT2_lPS4_l, .Lfunc_end22-_ZN9rocsparseL27dense_transpose_back_kernelILj32ELj8El21rocsparse_complex_numIfEEEvT1_S3_PKT2_lPS4_l
                                        ; -- End function
	.set _ZN9rocsparseL27dense_transpose_back_kernelILj32ELj8El21rocsparse_complex_numIfEEEvT1_S3_PKT2_lPS4_l.num_vgpr, 31
	.set _ZN9rocsparseL27dense_transpose_back_kernelILj32ELj8El21rocsparse_complex_numIfEEEvT1_S3_PKT2_lPS4_l.num_agpr, 0
	.set _ZN9rocsparseL27dense_transpose_back_kernelILj32ELj8El21rocsparse_complex_numIfEEEvT1_S3_PKT2_lPS4_l.numbered_sgpr, 24
	.set _ZN9rocsparseL27dense_transpose_back_kernelILj32ELj8El21rocsparse_complex_numIfEEEvT1_S3_PKT2_lPS4_l.num_named_barrier, 0
	.set _ZN9rocsparseL27dense_transpose_back_kernelILj32ELj8El21rocsparse_complex_numIfEEEvT1_S3_PKT2_lPS4_l.private_seg_size, 0
	.set _ZN9rocsparseL27dense_transpose_back_kernelILj32ELj8El21rocsparse_complex_numIfEEEvT1_S3_PKT2_lPS4_l.uses_vcc, 1
	.set _ZN9rocsparseL27dense_transpose_back_kernelILj32ELj8El21rocsparse_complex_numIfEEEvT1_S3_PKT2_lPS4_l.uses_flat_scratch, 0
	.set _ZN9rocsparseL27dense_transpose_back_kernelILj32ELj8El21rocsparse_complex_numIfEEEvT1_S3_PKT2_lPS4_l.has_dyn_sized_stack, 0
	.set _ZN9rocsparseL27dense_transpose_back_kernelILj32ELj8El21rocsparse_complex_numIfEEEvT1_S3_PKT2_lPS4_l.has_recursion, 0
	.set _ZN9rocsparseL27dense_transpose_back_kernelILj32ELj8El21rocsparse_complex_numIfEEEvT1_S3_PKT2_lPS4_l.has_indirect_call, 0
	.section	.AMDGPU.csdata,"",@progbits
; Kernel info:
; codeLenInByte = 1124
; TotalNumSgprs: 28
; NumVgprs: 31
; ScratchSize: 0
; MemoryBound: 1
; FloatMode: 240
; IeeeMode: 1
; LDSByteSize: 8192 bytes/workgroup (compile time only)
; SGPRBlocks: 8
; VGPRBlocks: 7
; NumSGPRsForWavesPerEU: 65
; NumVGPRsForWavesPerEU: 31
; Occupancy: 8
; WaveLimiterHint : 0
; COMPUTE_PGM_RSRC2:SCRATCH_EN: 0
; COMPUTE_PGM_RSRC2:USER_SGPR: 6
; COMPUTE_PGM_RSRC2:TRAP_HANDLER: 0
; COMPUTE_PGM_RSRC2:TGID_X_EN: 1
; COMPUTE_PGM_RSRC2:TGID_Y_EN: 0
; COMPUTE_PGM_RSRC2:TGID_Z_EN: 0
; COMPUTE_PGM_RSRC2:TIDIG_COMP_CNT: 0
	.section	.text._ZN9rocsparseL27dense_transpose_back_kernelILj32ELj8El21rocsparse_complex_numIdEEEvT1_S3_PKT2_lPS4_l,"axG",@progbits,_ZN9rocsparseL27dense_transpose_back_kernelILj32ELj8El21rocsparse_complex_numIdEEEvT1_S3_PKT2_lPS4_l,comdat
	.globl	_ZN9rocsparseL27dense_transpose_back_kernelILj32ELj8El21rocsparse_complex_numIdEEEvT1_S3_PKT2_lPS4_l ; -- Begin function _ZN9rocsparseL27dense_transpose_back_kernelILj32ELj8El21rocsparse_complex_numIdEEEvT1_S3_PKT2_lPS4_l
	.p2align	8
	.type	_ZN9rocsparseL27dense_transpose_back_kernelILj32ELj8El21rocsparse_complex_numIdEEEvT1_S3_PKT2_lPS4_l,@function
_ZN9rocsparseL27dense_transpose_back_kernelILj32ELj8El21rocsparse_complex_numIdEEEvT1_S3_PKT2_lPS4_l: ; @_ZN9rocsparseL27dense_transpose_back_kernelILj32ELj8El21rocsparse_complex_numIdEEEvT1_S3_PKT2_lPS4_l
; %bb.0:
	s_load_dwordx8 s[12:19], s[4:5], 0x0
	s_waitcnt lgkmcnt(0)
	v_cmp_lt_i64_e64 s[0:1], s[14:15], 1
	s_and_b64 vcc, exec, s[0:1]
	s_cbranch_vccnz .LBB23_20
; %bb.1:
	s_load_dwordx4 s[20:23], s[4:5], 0x20
	s_lshl_b32 s0, s6, 5
	v_lshrrev_b32_e32 v14, 5, v0
	v_or_b32_e32 v2, s0, v14
	v_mov_b32_e32 v3, 0
	v_and_b32_e32 v15, 31, v0
	v_lshlrev_b32_e32 v4, 4, v14
	v_lshl_or_b32 v17, v15, 9, v4
	v_or_b32_e32 v4, 8, v2
	v_mov_b32_e32 v5, v3
	v_cmp_le_i64_e64 s[4:5], s[12:13], v[4:5]
	v_or_b32_e32 v5, 16, v2
	v_mov_b32_e32 v6, v3
	v_cmp_le_i64_e64 s[6:7], s[12:13], v[5:6]
	;; [unrolled: 3-line block ×3, first 2 shown]
	s_waitcnt lgkmcnt(0)
	v_mad_u64_u32 v[7:8], s[10:11], s22, v14, 0
	v_mov_b32_e32 v1, v3
	v_cmp_le_i64_e64 s[2:3], s[12:13], v[2:3]
	v_mov_b32_e32 v3, v8
	v_mad_u64_u32 v[8:9], s[10:11], s23, v14, v[3:4]
	v_or_b32_e32 v11, 24, v14
	v_mad_u64_u32 v[9:10], s[10:11], s22, v11, 0
	v_lshlrev_b64 v[7:8], 4, v[7:8]
	v_mov_b32_e32 v12, s21
	v_mov_b32_e32 v3, v10
	v_mad_u64_u32 v[10:11], s[10:11], s23, v11, v[3:4]
	v_add_co_u32_e32 v24, vcc, s20, v7
	v_or_b32_e32 v11, 16, v14
	v_addc_co_u32_e32 v25, vcc, v12, v8, vcc
	v_lshlrev_b64 v[7:8], 4, v[9:10]
	v_mad_u64_u32 v[9:10], s[10:11], s22, v11, 0
	v_mov_b32_e32 v3, s21
	v_add_co_u32_e32 v26, vcc, s20, v7
	v_addc_co_u32_e32 v27, vcc, v3, v8, vcc
	v_mov_b32_e32 v3, v10
	v_mad_u64_u32 v[7:8], s[10:11], s23, v11, v[3:4]
	v_or_b32_e32 v28, 8, v14
	v_mad_u64_u32 v[11:12], s[10:11], s22, v28, 0
	v_mov_b32_e32 v10, v7
	v_lshlrev_b64 v[7:8], 4, v[9:10]
	v_mov_b32_e32 v3, v12
	v_mov_b32_e32 v29, s21
	v_mad_u64_u32 v[9:10], s[10:11], s23, v28, v[3:4]
	v_add_co_u32_e32 v28, vcc, s20, v7
	v_addc_co_u32_e32 v29, vcc, v29, v8, vcc
	v_mad_u64_u32 v[7:8], s[10:11], s18, v2, 0
	v_mov_b32_e32 v12, v9
	v_lshlrev_b64 v[9:10], 4, v[11:12]
	v_mov_b32_e32 v3, v8
	v_mad_u64_u32 v[2:3], s[10:11], s19, v2, v[3:4]
	v_mov_b32_e32 v11, s21
	v_add_co_u32_e32 v30, vcc, s20, v9
	v_mov_b32_e32 v8, v2
	v_lshlrev_b64 v[2:3], 4, v[7:8]
	v_mad_u64_u32 v[7:8], s[10:11], s18, v4, 0
	v_lshlrev_b32_e32 v13, 4, v15
	v_addc_co_u32_e32 v31, vcc, v11, v10, vcc
	v_add_co_u32_e32 v10, vcc, v2, v13
	v_addc_co_u32_e32 v3, vcc, 0, v3, vcc
	v_mov_b32_e32 v2, v8
	v_mad_u64_u32 v[8:9], s[10:11], s19, v4, v[2:3]
	v_add_co_u32_e32 v2, vcc, s16, v10
	v_mad_u64_u32 v[9:10], s[10:11], s18, v5, 0
	v_mov_b32_e32 v11, s17
	v_lshlrev_b64 v[7:8], 4, v[7:8]
	v_addc_co_u32_e32 v3, vcc, v11, v3, vcc
	v_add_co_u32_e32 v11, vcc, v7, v13
	v_mov_b32_e32 v4, v10
	v_addc_co_u32_e32 v12, vcc, 0, v8, vcc
	v_mad_u64_u32 v[7:8], s[10:11], s19, v5, v[4:5]
	v_mov_b32_e32 v32, s17
	v_add_co_u32_e32 v4, vcc, s16, v11
	v_mov_b32_e32 v10, v7
	v_lshlrev_b64 v[7:8], 4, v[9:10]
	v_mad_u64_u32 v[9:10], s[10:11], s18, v6, 0
	v_addc_co_u32_e32 v5, vcc, v32, v12, vcc
	v_add_co_u32_e32 v12, vcc, v7, v13
	v_addc_co_u32_e32 v8, vcc, 0, v8, vcc
	v_mov_b32_e32 v7, v10
	v_mad_u64_u32 v[10:11], s[10:11], s19, v6, v[7:8]
	v_add_co_u32_e32 v6, vcc, s16, v12
	v_addc_co_u32_e32 v7, vcc, v32, v8, vcc
	v_lshlrev_b64 v[8:9], 4, v[9:10]
	v_or_b32_e32 v0, s0, v15
	v_add_co_u32_e32 v8, vcc, v8, v13
	v_addc_co_u32_e32 v9, vcc, 0, v9, vcc
	v_mov_b32_e32 v10, s17
	v_add_co_u32_e32 v8, vcc, s16, v8
	v_lshl_or_b32 v16, v14, 9, v13
	v_cmp_gt_i64_e64 s[0:1], s[12:13], v[0:1]
	v_lshlrev_b64 v[0:1], 4, v[0:1]
	s_lshl_b64 s[12:13], s[22:23], 9
	v_addc_co_u32_e32 v9, vcc, v10, v9, vcc
	v_mov_b32_e32 v10, s14
	v_or_b32_e32 v18, 0x1000, v16
	v_or_b32_e32 v19, 0x2000, v16
	;; [unrolled: 1-line block ×6, first 2 shown]
	s_mov_b64 s[16:17], 0
	v_mov_b32_e32 v32, s13
	v_mov_b32_e32 v11, s15
	s_movk_i32 s13, 0x200
	s_branch .LBB23_3
.LBB23_2:                               ;   in Loop: Header=BB23_3 Depth=1
	s_or_b64 exec, exec, s[10:11]
	v_add_co_u32_e32 v24, vcc, s12, v24
	v_addc_co_u32_e32 v25, vcc, v25, v32, vcc
	v_add_co_u32_e32 v26, vcc, s12, v26
	v_addc_co_u32_e32 v27, vcc, v27, v32, vcc
	;; [unrolled: 2-line block ×6, first 2 shown]
	s_add_u32 s16, s16, 32
	v_add_co_u32_e32 v6, vcc, 0x200, v6
	s_addc_u32 s17, s17, 0
	v_addc_co_u32_e32 v7, vcc, 0, v7, vcc
	v_add_co_u32_e32 v8, vcc, 0x200, v8
	v_cmp_lt_i64_e64 s[10:11], s[16:17], v[10:11]
	v_addc_co_u32_e32 v9, vcc, 0, v9, vcc
	s_and_b64 vcc, exec, s[10:11]
	s_cbranch_vccz .LBB23_20
.LBB23_3:                               ; =>This Inner Loop Header: Depth=1
	v_mov_b32_e32 v13, s17
	v_add_co_u32_e32 v12, vcc, s16, v15
	v_addc_co_u32_e32 v13, vcc, 0, v13, vcc
	v_cmp_le_i64_e32 vcc, s[14:15], v[12:13]
	s_nor_b64 s[18:19], vcc, s[2:3]
	s_waitcnt vmcnt(0)
	s_barrier
	s_and_saveexec_b64 s[10:11], s[18:19]
	s_cbranch_execnz .LBB23_17
; %bb.4:                                ;   in Loop: Header=BB23_3 Depth=1
	s_or_b64 exec, exec, s[10:11]
	s_nor_b64 s[18:19], vcc, s[4:5]
	s_and_saveexec_b64 s[10:11], s[18:19]
	s_cbranch_execnz .LBB23_18
.LBB23_5:                               ;   in Loop: Header=BB23_3 Depth=1
	s_or_b64 exec, exec, s[10:11]
	s_nor_b64 s[18:19], vcc, s[6:7]
	s_and_saveexec_b64 s[10:11], s[18:19]
	s_cbranch_execnz .LBB23_19
.LBB23_6:                               ;   in Loop: Header=BB23_3 Depth=1
	s_or_b64 exec, exec, s[10:11]
	s_nor_b64 s[18:19], vcc, s[8:9]
	s_and_saveexec_b64 s[10:11], s[18:19]
	s_cbranch_execz .LBB23_8
.LBB23_7:                               ;   in Loop: Header=BB23_3 Depth=1
	global_load_dwordx4 v[33:36], v[8:9], off
	s_waitcnt vmcnt(0)
	ds_write2_b64 v20, v[33:34], v[35:36] offset1:1
.LBB23_8:                               ;   in Loop: Header=BB23_3 Depth=1
	s_or_b64 exec, exec, s[10:11]
	v_mov_b32_e32 v13, s17
	v_add_co_u32_e32 v12, vcc, s16, v14
	v_addc_co_u32_e32 v13, vcc, 0, v13, vcc
	v_cmp_gt_i64_e32 vcc, s[14:15], v[12:13]
	s_waitcnt lgkmcnt(0)
	s_and_b64 s[18:19], s[0:1], vcc
	s_barrier
	s_and_saveexec_b64 s[10:11], s[18:19]
	s_cbranch_execz .LBB23_10
; %bb.9:                                ;   in Loop: Header=BB23_3 Depth=1
	ds_read2_b64 v[33:36], v17 offset1:1
	v_add_co_u32_e32 v37, vcc, v24, v0
	v_addc_co_u32_e32 v38, vcc, v25, v1, vcc
	s_waitcnt lgkmcnt(0)
	global_store_dwordx4 v[37:38], v[33:36], off
.LBB23_10:                              ;   in Loop: Header=BB23_3 Depth=1
	s_or_b64 exec, exec, s[10:11]
	s_and_saveexec_b64 s[10:11], s[0:1]
	s_cbranch_execz .LBB23_2
; %bb.11:                               ;   in Loop: Header=BB23_3 Depth=1
	v_add_co_u32_e32 v33, vcc, 8, v12
	v_addc_co_u32_e32 v34, vcc, 0, v13, vcc
	v_cmp_gt_i64_e32 vcc, s[14:15], v[33:34]
	s_and_saveexec_b64 s[18:19], vcc
	s_cbranch_execz .LBB23_13
; %bb.12:                               ;   in Loop: Header=BB23_3 Depth=1
	ds_read2_b64 v[33:36], v21 offset1:1
	v_add_co_u32_e32 v37, vcc, v30, v0
	v_addc_co_u32_e32 v38, vcc, v31, v1, vcc
	s_waitcnt lgkmcnt(0)
	global_store_dwordx4 v[37:38], v[33:36], off
.LBB23_13:                              ;   in Loop: Header=BB23_3 Depth=1
	s_or_b64 exec, exec, s[18:19]
	v_add_co_u32_e32 v33, vcc, 16, v12
	v_addc_co_u32_e32 v34, vcc, 0, v13, vcc
	v_cmp_gt_i64_e32 vcc, s[14:15], v[33:34]
	s_and_saveexec_b64 s[18:19], vcc
	s_cbranch_execz .LBB23_15
; %bb.14:                               ;   in Loop: Header=BB23_3 Depth=1
	ds_read2_b64 v[33:36], v22 offset1:1
	v_add_co_u32_e32 v37, vcc, v28, v0
	v_addc_co_u32_e32 v38, vcc, v29, v1, vcc
	s_waitcnt lgkmcnt(0)
	global_store_dwordx4 v[37:38], v[33:36], off
.LBB23_15:                              ;   in Loop: Header=BB23_3 Depth=1
	s_or_b64 exec, exec, s[18:19]
	v_add_co_u32_e32 v12, vcc, 24, v12
	v_addc_co_u32_e32 v13, vcc, 0, v13, vcc
	v_cmp_gt_i64_e32 vcc, s[14:15], v[12:13]
	s_and_b64 exec, exec, vcc
	s_cbranch_execz .LBB23_2
; %bb.16:                               ;   in Loop: Header=BB23_3 Depth=1
	ds_read2_b64 v[33:36], v23 offset1:1
	v_add_co_u32_e32 v12, vcc, v26, v0
	v_addc_co_u32_e32 v13, vcc, v27, v1, vcc
	s_waitcnt lgkmcnt(0)
	global_store_dwordx4 v[12:13], v[33:36], off
	s_branch .LBB23_2
.LBB23_17:                              ;   in Loop: Header=BB23_3 Depth=1
	global_load_dwordx4 v[33:36], v[2:3], off
	s_waitcnt vmcnt(0)
	ds_write2_b64 v16, v[33:34], v[35:36] offset1:1
	s_or_b64 exec, exec, s[10:11]
	s_nor_b64 s[18:19], vcc, s[4:5]
	s_and_saveexec_b64 s[10:11], s[18:19]
	s_cbranch_execz .LBB23_5
.LBB23_18:                              ;   in Loop: Header=BB23_3 Depth=1
	global_load_dwordx4 v[33:36], v[4:5], off
	s_waitcnt vmcnt(0)
	ds_write2_b64 v18, v[33:34], v[35:36] offset1:1
	s_or_b64 exec, exec, s[10:11]
	s_nor_b64 s[18:19], vcc, s[6:7]
	s_and_saveexec_b64 s[10:11], s[18:19]
	s_cbranch_execz .LBB23_6
.LBB23_19:                              ;   in Loop: Header=BB23_3 Depth=1
	global_load_dwordx4 v[33:36], v[6:7], off
	s_waitcnt vmcnt(0)
	ds_write2_b64 v19, v[33:34], v[35:36] offset1:1
	s_or_b64 exec, exec, s[10:11]
	s_nor_b64 s[18:19], vcc, s[8:9]
	s_and_saveexec_b64 s[10:11], s[18:19]
	s_cbranch_execnz .LBB23_7
	s_branch .LBB23_8
.LBB23_20:
	s_endpgm
	.section	.rodata,"a",@progbits
	.p2align	6, 0x0
	.amdhsa_kernel _ZN9rocsparseL27dense_transpose_back_kernelILj32ELj8El21rocsparse_complex_numIdEEEvT1_S3_PKT2_lPS4_l
		.amdhsa_group_segment_fixed_size 16384
		.amdhsa_private_segment_fixed_size 0
		.amdhsa_kernarg_size 48
		.amdhsa_user_sgpr_count 6
		.amdhsa_user_sgpr_private_segment_buffer 1
		.amdhsa_user_sgpr_dispatch_ptr 0
		.amdhsa_user_sgpr_queue_ptr 0
		.amdhsa_user_sgpr_kernarg_segment_ptr 1
		.amdhsa_user_sgpr_dispatch_id 0
		.amdhsa_user_sgpr_flat_scratch_init 0
		.amdhsa_user_sgpr_private_segment_size 0
		.amdhsa_uses_dynamic_stack 0
		.amdhsa_system_sgpr_private_segment_wavefront_offset 0
		.amdhsa_system_sgpr_workgroup_id_x 1
		.amdhsa_system_sgpr_workgroup_id_y 0
		.amdhsa_system_sgpr_workgroup_id_z 0
		.amdhsa_system_sgpr_workgroup_info 0
		.amdhsa_system_vgpr_workitem_id 0
		.amdhsa_next_free_vgpr 49
		.amdhsa_next_free_sgpr 98
		.amdhsa_reserve_vcc 1
		.amdhsa_reserve_flat_scratch 0
		.amdhsa_float_round_mode_32 0
		.amdhsa_float_round_mode_16_64 0
		.amdhsa_float_denorm_mode_32 3
		.amdhsa_float_denorm_mode_16_64 3
		.amdhsa_dx10_clamp 1
		.amdhsa_ieee_mode 1
		.amdhsa_fp16_overflow 0
		.amdhsa_exception_fp_ieee_invalid_op 0
		.amdhsa_exception_fp_denorm_src 0
		.amdhsa_exception_fp_ieee_div_zero 0
		.amdhsa_exception_fp_ieee_overflow 0
		.amdhsa_exception_fp_ieee_underflow 0
		.amdhsa_exception_fp_ieee_inexact 0
		.amdhsa_exception_int_div_zero 0
	.end_amdhsa_kernel
	.section	.text._ZN9rocsparseL27dense_transpose_back_kernelILj32ELj8El21rocsparse_complex_numIdEEEvT1_S3_PKT2_lPS4_l,"axG",@progbits,_ZN9rocsparseL27dense_transpose_back_kernelILj32ELj8El21rocsparse_complex_numIdEEEvT1_S3_PKT2_lPS4_l,comdat
.Lfunc_end23:
	.size	_ZN9rocsparseL27dense_transpose_back_kernelILj32ELj8El21rocsparse_complex_numIdEEEvT1_S3_PKT2_lPS4_l, .Lfunc_end23-_ZN9rocsparseL27dense_transpose_back_kernelILj32ELj8El21rocsparse_complex_numIdEEEvT1_S3_PKT2_lPS4_l
                                        ; -- End function
	.set _ZN9rocsparseL27dense_transpose_back_kernelILj32ELj8El21rocsparse_complex_numIdEEEvT1_S3_PKT2_lPS4_l.num_vgpr, 39
	.set _ZN9rocsparseL27dense_transpose_back_kernelILj32ELj8El21rocsparse_complex_numIdEEEvT1_S3_PKT2_lPS4_l.num_agpr, 0
	.set _ZN9rocsparseL27dense_transpose_back_kernelILj32ELj8El21rocsparse_complex_numIdEEEvT1_S3_PKT2_lPS4_l.numbered_sgpr, 24
	.set _ZN9rocsparseL27dense_transpose_back_kernelILj32ELj8El21rocsparse_complex_numIdEEEvT1_S3_PKT2_lPS4_l.num_named_barrier, 0
	.set _ZN9rocsparseL27dense_transpose_back_kernelILj32ELj8El21rocsparse_complex_numIdEEEvT1_S3_PKT2_lPS4_l.private_seg_size, 0
	.set _ZN9rocsparseL27dense_transpose_back_kernelILj32ELj8El21rocsparse_complex_numIdEEEvT1_S3_PKT2_lPS4_l.uses_vcc, 1
	.set _ZN9rocsparseL27dense_transpose_back_kernelILj32ELj8El21rocsparse_complex_numIdEEEvT1_S3_PKT2_lPS4_l.uses_flat_scratch, 0
	.set _ZN9rocsparseL27dense_transpose_back_kernelILj32ELj8El21rocsparse_complex_numIdEEEvT1_S3_PKT2_lPS4_l.has_dyn_sized_stack, 0
	.set _ZN9rocsparseL27dense_transpose_back_kernelILj32ELj8El21rocsparse_complex_numIdEEEvT1_S3_PKT2_lPS4_l.has_recursion, 0
	.set _ZN9rocsparseL27dense_transpose_back_kernelILj32ELj8El21rocsparse_complex_numIdEEEvT1_S3_PKT2_lPS4_l.has_indirect_call, 0
	.section	.AMDGPU.csdata,"",@progbits
; Kernel info:
; codeLenInByte = 1176
; TotalNumSgprs: 28
; NumVgprs: 39
; ScratchSize: 0
; MemoryBound: 0
; FloatMode: 240
; IeeeMode: 1
; LDSByteSize: 16384 bytes/workgroup (compile time only)
; SGPRBlocks: 12
; VGPRBlocks: 12
; NumSGPRsForWavesPerEU: 102
; NumVGPRsForWavesPerEU: 49
; Occupancy: 4
; WaveLimiterHint : 0
; COMPUTE_PGM_RSRC2:SCRATCH_EN: 0
; COMPUTE_PGM_RSRC2:USER_SGPR: 6
; COMPUTE_PGM_RSRC2:TRAP_HANDLER: 0
; COMPUTE_PGM_RSRC2:TGID_X_EN: 1
; COMPUTE_PGM_RSRC2:TGID_Y_EN: 0
; COMPUTE_PGM_RSRC2:TGID_Z_EN: 0
; COMPUTE_PGM_RSRC2:TIDIG_COMP_CNT: 0
	.section	.text._ZN9rocsparseL16conjugate_kernelILj256EifEEvT0_PT1_,"axG",@progbits,_ZN9rocsparseL16conjugate_kernelILj256EifEEvT0_PT1_,comdat
	.globl	_ZN9rocsparseL16conjugate_kernelILj256EifEEvT0_PT1_ ; -- Begin function _ZN9rocsparseL16conjugate_kernelILj256EifEEvT0_PT1_
	.p2align	8
	.type	_ZN9rocsparseL16conjugate_kernelILj256EifEEvT0_PT1_,@function
_ZN9rocsparseL16conjugate_kernelILj256EifEEvT0_PT1_: ; @_ZN9rocsparseL16conjugate_kernelILj256EifEEvT0_PT1_
; %bb.0:
	s_endpgm
	.section	.rodata,"a",@progbits
	.p2align	6, 0x0
	.amdhsa_kernel _ZN9rocsparseL16conjugate_kernelILj256EifEEvT0_PT1_
		.amdhsa_group_segment_fixed_size 0
		.amdhsa_private_segment_fixed_size 0
		.amdhsa_kernarg_size 16
		.amdhsa_user_sgpr_count 6
		.amdhsa_user_sgpr_private_segment_buffer 1
		.amdhsa_user_sgpr_dispatch_ptr 0
		.amdhsa_user_sgpr_queue_ptr 0
		.amdhsa_user_sgpr_kernarg_segment_ptr 1
		.amdhsa_user_sgpr_dispatch_id 0
		.amdhsa_user_sgpr_flat_scratch_init 0
		.amdhsa_user_sgpr_private_segment_size 0
		.amdhsa_uses_dynamic_stack 0
		.amdhsa_system_sgpr_private_segment_wavefront_offset 0
		.amdhsa_system_sgpr_workgroup_id_x 1
		.amdhsa_system_sgpr_workgroup_id_y 0
		.amdhsa_system_sgpr_workgroup_id_z 0
		.amdhsa_system_sgpr_workgroup_info 0
		.amdhsa_system_vgpr_workitem_id 0
		.amdhsa_next_free_vgpr 1
		.amdhsa_next_free_sgpr 0
		.amdhsa_reserve_vcc 0
		.amdhsa_reserve_flat_scratch 0
		.amdhsa_float_round_mode_32 0
		.amdhsa_float_round_mode_16_64 0
		.amdhsa_float_denorm_mode_32 3
		.amdhsa_float_denorm_mode_16_64 3
		.amdhsa_dx10_clamp 1
		.amdhsa_ieee_mode 1
		.amdhsa_fp16_overflow 0
		.amdhsa_exception_fp_ieee_invalid_op 0
		.amdhsa_exception_fp_denorm_src 0
		.amdhsa_exception_fp_ieee_div_zero 0
		.amdhsa_exception_fp_ieee_overflow 0
		.amdhsa_exception_fp_ieee_underflow 0
		.amdhsa_exception_fp_ieee_inexact 0
		.amdhsa_exception_int_div_zero 0
	.end_amdhsa_kernel
	.section	.text._ZN9rocsparseL16conjugate_kernelILj256EifEEvT0_PT1_,"axG",@progbits,_ZN9rocsparseL16conjugate_kernelILj256EifEEvT0_PT1_,comdat
.Lfunc_end24:
	.size	_ZN9rocsparseL16conjugate_kernelILj256EifEEvT0_PT1_, .Lfunc_end24-_ZN9rocsparseL16conjugate_kernelILj256EifEEvT0_PT1_
                                        ; -- End function
	.set _ZN9rocsparseL16conjugate_kernelILj256EifEEvT0_PT1_.num_vgpr, 0
	.set _ZN9rocsparseL16conjugate_kernelILj256EifEEvT0_PT1_.num_agpr, 0
	.set _ZN9rocsparseL16conjugate_kernelILj256EifEEvT0_PT1_.numbered_sgpr, 0
	.set _ZN9rocsparseL16conjugate_kernelILj256EifEEvT0_PT1_.num_named_barrier, 0
	.set _ZN9rocsparseL16conjugate_kernelILj256EifEEvT0_PT1_.private_seg_size, 0
	.set _ZN9rocsparseL16conjugate_kernelILj256EifEEvT0_PT1_.uses_vcc, 0
	.set _ZN9rocsparseL16conjugate_kernelILj256EifEEvT0_PT1_.uses_flat_scratch, 0
	.set _ZN9rocsparseL16conjugate_kernelILj256EifEEvT0_PT1_.has_dyn_sized_stack, 0
	.set _ZN9rocsparseL16conjugate_kernelILj256EifEEvT0_PT1_.has_recursion, 0
	.set _ZN9rocsparseL16conjugate_kernelILj256EifEEvT0_PT1_.has_indirect_call, 0
	.section	.AMDGPU.csdata,"",@progbits
; Kernel info:
; codeLenInByte = 4
; TotalNumSgprs: 4
; NumVgprs: 0
; ScratchSize: 0
; MemoryBound: 0
; FloatMode: 240
; IeeeMode: 1
; LDSByteSize: 0 bytes/workgroup (compile time only)
; SGPRBlocks: 0
; VGPRBlocks: 0
; NumSGPRsForWavesPerEU: 4
; NumVGPRsForWavesPerEU: 1
; Occupancy: 10
; WaveLimiterHint : 0
; COMPUTE_PGM_RSRC2:SCRATCH_EN: 0
; COMPUTE_PGM_RSRC2:USER_SGPR: 6
; COMPUTE_PGM_RSRC2:TRAP_HANDLER: 0
; COMPUTE_PGM_RSRC2:TGID_X_EN: 1
; COMPUTE_PGM_RSRC2:TGID_Y_EN: 0
; COMPUTE_PGM_RSRC2:TGID_Z_EN: 0
; COMPUTE_PGM_RSRC2:TIDIG_COMP_CNT: 0
	.section	.text._ZN9rocsparseL16conjugate_kernelILj256EidEEvT0_PT1_,"axG",@progbits,_ZN9rocsparseL16conjugate_kernelILj256EidEEvT0_PT1_,comdat
	.globl	_ZN9rocsparseL16conjugate_kernelILj256EidEEvT0_PT1_ ; -- Begin function _ZN9rocsparseL16conjugate_kernelILj256EidEEvT0_PT1_
	.p2align	8
	.type	_ZN9rocsparseL16conjugate_kernelILj256EidEEvT0_PT1_,@function
_ZN9rocsparseL16conjugate_kernelILj256EidEEvT0_PT1_: ; @_ZN9rocsparseL16conjugate_kernelILj256EidEEvT0_PT1_
; %bb.0:
	s_endpgm
	.section	.rodata,"a",@progbits
	.p2align	6, 0x0
	.amdhsa_kernel _ZN9rocsparseL16conjugate_kernelILj256EidEEvT0_PT1_
		.amdhsa_group_segment_fixed_size 0
		.amdhsa_private_segment_fixed_size 0
		.amdhsa_kernarg_size 16
		.amdhsa_user_sgpr_count 6
		.amdhsa_user_sgpr_private_segment_buffer 1
		.amdhsa_user_sgpr_dispatch_ptr 0
		.amdhsa_user_sgpr_queue_ptr 0
		.amdhsa_user_sgpr_kernarg_segment_ptr 1
		.amdhsa_user_sgpr_dispatch_id 0
		.amdhsa_user_sgpr_flat_scratch_init 0
		.amdhsa_user_sgpr_private_segment_size 0
		.amdhsa_uses_dynamic_stack 0
		.amdhsa_system_sgpr_private_segment_wavefront_offset 0
		.amdhsa_system_sgpr_workgroup_id_x 1
		.amdhsa_system_sgpr_workgroup_id_y 0
		.amdhsa_system_sgpr_workgroup_id_z 0
		.amdhsa_system_sgpr_workgroup_info 0
		.amdhsa_system_vgpr_workitem_id 0
		.amdhsa_next_free_vgpr 1
		.amdhsa_next_free_sgpr 0
		.amdhsa_reserve_vcc 0
		.amdhsa_reserve_flat_scratch 0
		.amdhsa_float_round_mode_32 0
		.amdhsa_float_round_mode_16_64 0
		.amdhsa_float_denorm_mode_32 3
		.amdhsa_float_denorm_mode_16_64 3
		.amdhsa_dx10_clamp 1
		.amdhsa_ieee_mode 1
		.amdhsa_fp16_overflow 0
		.amdhsa_exception_fp_ieee_invalid_op 0
		.amdhsa_exception_fp_denorm_src 0
		.amdhsa_exception_fp_ieee_div_zero 0
		.amdhsa_exception_fp_ieee_overflow 0
		.amdhsa_exception_fp_ieee_underflow 0
		.amdhsa_exception_fp_ieee_inexact 0
		.amdhsa_exception_int_div_zero 0
	.end_amdhsa_kernel
	.section	.text._ZN9rocsparseL16conjugate_kernelILj256EidEEvT0_PT1_,"axG",@progbits,_ZN9rocsparseL16conjugate_kernelILj256EidEEvT0_PT1_,comdat
.Lfunc_end25:
	.size	_ZN9rocsparseL16conjugate_kernelILj256EidEEvT0_PT1_, .Lfunc_end25-_ZN9rocsparseL16conjugate_kernelILj256EidEEvT0_PT1_
                                        ; -- End function
	.set _ZN9rocsparseL16conjugate_kernelILj256EidEEvT0_PT1_.num_vgpr, 0
	.set _ZN9rocsparseL16conjugate_kernelILj256EidEEvT0_PT1_.num_agpr, 0
	.set _ZN9rocsparseL16conjugate_kernelILj256EidEEvT0_PT1_.numbered_sgpr, 0
	.set _ZN9rocsparseL16conjugate_kernelILj256EidEEvT0_PT1_.num_named_barrier, 0
	.set _ZN9rocsparseL16conjugate_kernelILj256EidEEvT0_PT1_.private_seg_size, 0
	.set _ZN9rocsparseL16conjugate_kernelILj256EidEEvT0_PT1_.uses_vcc, 0
	.set _ZN9rocsparseL16conjugate_kernelILj256EidEEvT0_PT1_.uses_flat_scratch, 0
	.set _ZN9rocsparseL16conjugate_kernelILj256EidEEvT0_PT1_.has_dyn_sized_stack, 0
	.set _ZN9rocsparseL16conjugate_kernelILj256EidEEvT0_PT1_.has_recursion, 0
	.set _ZN9rocsparseL16conjugate_kernelILj256EidEEvT0_PT1_.has_indirect_call, 0
	.section	.AMDGPU.csdata,"",@progbits
; Kernel info:
; codeLenInByte = 4
; TotalNumSgprs: 4
; NumVgprs: 0
; ScratchSize: 0
; MemoryBound: 0
; FloatMode: 240
; IeeeMode: 1
; LDSByteSize: 0 bytes/workgroup (compile time only)
; SGPRBlocks: 0
; VGPRBlocks: 0
; NumSGPRsForWavesPerEU: 4
; NumVGPRsForWavesPerEU: 1
; Occupancy: 10
; WaveLimiterHint : 0
; COMPUTE_PGM_RSRC2:SCRATCH_EN: 0
; COMPUTE_PGM_RSRC2:USER_SGPR: 6
; COMPUTE_PGM_RSRC2:TRAP_HANDLER: 0
; COMPUTE_PGM_RSRC2:TGID_X_EN: 1
; COMPUTE_PGM_RSRC2:TGID_Y_EN: 0
; COMPUTE_PGM_RSRC2:TGID_Z_EN: 0
; COMPUTE_PGM_RSRC2:TIDIG_COMP_CNT: 0
	.section	.text._ZN9rocsparseL16conjugate_kernelILj256Ei21rocsparse_complex_numIfEEEvT0_PT1_,"axG",@progbits,_ZN9rocsparseL16conjugate_kernelILj256Ei21rocsparse_complex_numIfEEEvT0_PT1_,comdat
	.globl	_ZN9rocsparseL16conjugate_kernelILj256Ei21rocsparse_complex_numIfEEEvT0_PT1_ ; -- Begin function _ZN9rocsparseL16conjugate_kernelILj256Ei21rocsparse_complex_numIfEEEvT0_PT1_
	.p2align	8
	.type	_ZN9rocsparseL16conjugate_kernelILj256Ei21rocsparse_complex_numIfEEEvT0_PT1_,@function
_ZN9rocsparseL16conjugate_kernelILj256Ei21rocsparse_complex_numIfEEEvT0_PT1_: ; @_ZN9rocsparseL16conjugate_kernelILj256Ei21rocsparse_complex_numIfEEEvT0_PT1_
; %bb.0:
	s_load_dword s0, s[4:5], 0x0
	v_lshl_or_b32 v0, s6, 8, v0
	s_waitcnt lgkmcnt(0)
	v_cmp_gt_i32_e32 vcc, s0, v0
	s_and_saveexec_b64 s[0:1], vcc
	s_cbranch_execz .LBB26_2
; %bb.1:
	s_load_dwordx2 s[0:1], s[4:5], 0x8
	v_ashrrev_i32_e32 v1, 31, v0
	v_lshlrev_b64 v[0:1], 3, v[0:1]
	s_waitcnt lgkmcnt(0)
	v_mov_b32_e32 v2, s1
	v_add_co_u32_e32 v0, vcc, s0, v0
	v_addc_co_u32_e32 v1, vcc, v2, v1, vcc
	global_load_dword v2, v[0:1], off offset:4
	s_waitcnt vmcnt(0)
	v_xor_b32_e32 v2, 0x80000000, v2
	global_store_dword v[0:1], v2, off offset:4
.LBB26_2:
	s_endpgm
	.section	.rodata,"a",@progbits
	.p2align	6, 0x0
	.amdhsa_kernel _ZN9rocsparseL16conjugate_kernelILj256Ei21rocsparse_complex_numIfEEEvT0_PT1_
		.amdhsa_group_segment_fixed_size 0
		.amdhsa_private_segment_fixed_size 0
		.amdhsa_kernarg_size 16
		.amdhsa_user_sgpr_count 6
		.amdhsa_user_sgpr_private_segment_buffer 1
		.amdhsa_user_sgpr_dispatch_ptr 0
		.amdhsa_user_sgpr_queue_ptr 0
		.amdhsa_user_sgpr_kernarg_segment_ptr 1
		.amdhsa_user_sgpr_dispatch_id 0
		.amdhsa_user_sgpr_flat_scratch_init 0
		.amdhsa_user_sgpr_private_segment_size 0
		.amdhsa_uses_dynamic_stack 0
		.amdhsa_system_sgpr_private_segment_wavefront_offset 0
		.amdhsa_system_sgpr_workgroup_id_x 1
		.amdhsa_system_sgpr_workgroup_id_y 0
		.amdhsa_system_sgpr_workgroup_id_z 0
		.amdhsa_system_sgpr_workgroup_info 0
		.amdhsa_system_vgpr_workitem_id 0
		.amdhsa_next_free_vgpr 3
		.amdhsa_next_free_sgpr 7
		.amdhsa_reserve_vcc 1
		.amdhsa_reserve_flat_scratch 0
		.amdhsa_float_round_mode_32 0
		.amdhsa_float_round_mode_16_64 0
		.amdhsa_float_denorm_mode_32 3
		.amdhsa_float_denorm_mode_16_64 3
		.amdhsa_dx10_clamp 1
		.amdhsa_ieee_mode 1
		.amdhsa_fp16_overflow 0
		.amdhsa_exception_fp_ieee_invalid_op 0
		.amdhsa_exception_fp_denorm_src 0
		.amdhsa_exception_fp_ieee_div_zero 0
		.amdhsa_exception_fp_ieee_overflow 0
		.amdhsa_exception_fp_ieee_underflow 0
		.amdhsa_exception_fp_ieee_inexact 0
		.amdhsa_exception_int_div_zero 0
	.end_amdhsa_kernel
	.section	.text._ZN9rocsparseL16conjugate_kernelILj256Ei21rocsparse_complex_numIfEEEvT0_PT1_,"axG",@progbits,_ZN9rocsparseL16conjugate_kernelILj256Ei21rocsparse_complex_numIfEEEvT0_PT1_,comdat
.Lfunc_end26:
	.size	_ZN9rocsparseL16conjugate_kernelILj256Ei21rocsparse_complex_numIfEEEvT0_PT1_, .Lfunc_end26-_ZN9rocsparseL16conjugate_kernelILj256Ei21rocsparse_complex_numIfEEEvT0_PT1_
                                        ; -- End function
	.set _ZN9rocsparseL16conjugate_kernelILj256Ei21rocsparse_complex_numIfEEEvT0_PT1_.num_vgpr, 3
	.set _ZN9rocsparseL16conjugate_kernelILj256Ei21rocsparse_complex_numIfEEEvT0_PT1_.num_agpr, 0
	.set _ZN9rocsparseL16conjugate_kernelILj256Ei21rocsparse_complex_numIfEEEvT0_PT1_.numbered_sgpr, 7
	.set _ZN9rocsparseL16conjugate_kernelILj256Ei21rocsparse_complex_numIfEEEvT0_PT1_.num_named_barrier, 0
	.set _ZN9rocsparseL16conjugate_kernelILj256Ei21rocsparse_complex_numIfEEEvT0_PT1_.private_seg_size, 0
	.set _ZN9rocsparseL16conjugate_kernelILj256Ei21rocsparse_complex_numIfEEEvT0_PT1_.uses_vcc, 1
	.set _ZN9rocsparseL16conjugate_kernelILj256Ei21rocsparse_complex_numIfEEEvT0_PT1_.uses_flat_scratch, 0
	.set _ZN9rocsparseL16conjugate_kernelILj256Ei21rocsparse_complex_numIfEEEvT0_PT1_.has_dyn_sized_stack, 0
	.set _ZN9rocsparseL16conjugate_kernelILj256Ei21rocsparse_complex_numIfEEEvT0_PT1_.has_recursion, 0
	.set _ZN9rocsparseL16conjugate_kernelILj256Ei21rocsparse_complex_numIfEEEvT0_PT1_.has_indirect_call, 0
	.section	.AMDGPU.csdata,"",@progbits
; Kernel info:
; codeLenInByte = 100
; TotalNumSgprs: 11
; NumVgprs: 3
; ScratchSize: 0
; MemoryBound: 0
; FloatMode: 240
; IeeeMode: 1
; LDSByteSize: 0 bytes/workgroup (compile time only)
; SGPRBlocks: 1
; VGPRBlocks: 0
; NumSGPRsForWavesPerEU: 11
; NumVGPRsForWavesPerEU: 3
; Occupancy: 10
; WaveLimiterHint : 0
; COMPUTE_PGM_RSRC2:SCRATCH_EN: 0
; COMPUTE_PGM_RSRC2:USER_SGPR: 6
; COMPUTE_PGM_RSRC2:TRAP_HANDLER: 0
; COMPUTE_PGM_RSRC2:TGID_X_EN: 1
; COMPUTE_PGM_RSRC2:TGID_Y_EN: 0
; COMPUTE_PGM_RSRC2:TGID_Z_EN: 0
; COMPUTE_PGM_RSRC2:TIDIG_COMP_CNT: 0
	.section	.text._ZN9rocsparseL16conjugate_kernelILj256Ei21rocsparse_complex_numIdEEEvT0_PT1_,"axG",@progbits,_ZN9rocsparseL16conjugate_kernelILj256Ei21rocsparse_complex_numIdEEEvT0_PT1_,comdat
	.globl	_ZN9rocsparseL16conjugate_kernelILj256Ei21rocsparse_complex_numIdEEEvT0_PT1_ ; -- Begin function _ZN9rocsparseL16conjugate_kernelILj256Ei21rocsparse_complex_numIdEEEvT0_PT1_
	.p2align	8
	.type	_ZN9rocsparseL16conjugate_kernelILj256Ei21rocsparse_complex_numIdEEEvT0_PT1_,@function
_ZN9rocsparseL16conjugate_kernelILj256Ei21rocsparse_complex_numIdEEEvT0_PT1_: ; @_ZN9rocsparseL16conjugate_kernelILj256Ei21rocsparse_complex_numIdEEEvT0_PT1_
; %bb.0:
	s_load_dword s0, s[4:5], 0x0
	v_lshl_or_b32 v0, s6, 8, v0
	s_waitcnt lgkmcnt(0)
	v_cmp_gt_i32_e32 vcc, s0, v0
	s_and_saveexec_b64 s[0:1], vcc
	s_cbranch_execz .LBB27_2
; %bb.1:
	s_load_dwordx2 s[0:1], s[4:5], 0x8
	v_ashrrev_i32_e32 v1, 31, v0
	v_lshlrev_b64 v[0:1], 4, v[0:1]
	s_waitcnt lgkmcnt(0)
	v_mov_b32_e32 v2, s1
	v_add_co_u32_e32 v0, vcc, s0, v0
	v_addc_co_u32_e32 v1, vcc, v2, v1, vcc
	global_load_dwordx2 v[2:3], v[0:1], off offset:8
	s_waitcnt vmcnt(0)
	v_xor_b32_e32 v3, 0x80000000, v3
	global_store_dwordx2 v[0:1], v[2:3], off offset:8
.LBB27_2:
	s_endpgm
	.section	.rodata,"a",@progbits
	.p2align	6, 0x0
	.amdhsa_kernel _ZN9rocsparseL16conjugate_kernelILj256Ei21rocsparse_complex_numIdEEEvT0_PT1_
		.amdhsa_group_segment_fixed_size 0
		.amdhsa_private_segment_fixed_size 0
		.amdhsa_kernarg_size 16
		.amdhsa_user_sgpr_count 6
		.amdhsa_user_sgpr_private_segment_buffer 1
		.amdhsa_user_sgpr_dispatch_ptr 0
		.amdhsa_user_sgpr_queue_ptr 0
		.amdhsa_user_sgpr_kernarg_segment_ptr 1
		.amdhsa_user_sgpr_dispatch_id 0
		.amdhsa_user_sgpr_flat_scratch_init 0
		.amdhsa_user_sgpr_private_segment_size 0
		.amdhsa_uses_dynamic_stack 0
		.amdhsa_system_sgpr_private_segment_wavefront_offset 0
		.amdhsa_system_sgpr_workgroup_id_x 1
		.amdhsa_system_sgpr_workgroup_id_y 0
		.amdhsa_system_sgpr_workgroup_id_z 0
		.amdhsa_system_sgpr_workgroup_info 0
		.amdhsa_system_vgpr_workitem_id 0
		.amdhsa_next_free_vgpr 4
		.amdhsa_next_free_sgpr 7
		.amdhsa_reserve_vcc 1
		.amdhsa_reserve_flat_scratch 0
		.amdhsa_float_round_mode_32 0
		.amdhsa_float_round_mode_16_64 0
		.amdhsa_float_denorm_mode_32 3
		.amdhsa_float_denorm_mode_16_64 3
		.amdhsa_dx10_clamp 1
		.amdhsa_ieee_mode 1
		.amdhsa_fp16_overflow 0
		.amdhsa_exception_fp_ieee_invalid_op 0
		.amdhsa_exception_fp_denorm_src 0
		.amdhsa_exception_fp_ieee_div_zero 0
		.amdhsa_exception_fp_ieee_overflow 0
		.amdhsa_exception_fp_ieee_underflow 0
		.amdhsa_exception_fp_ieee_inexact 0
		.amdhsa_exception_int_div_zero 0
	.end_amdhsa_kernel
	.section	.text._ZN9rocsparseL16conjugate_kernelILj256Ei21rocsparse_complex_numIdEEEvT0_PT1_,"axG",@progbits,_ZN9rocsparseL16conjugate_kernelILj256Ei21rocsparse_complex_numIdEEEvT0_PT1_,comdat
.Lfunc_end27:
	.size	_ZN9rocsparseL16conjugate_kernelILj256Ei21rocsparse_complex_numIdEEEvT0_PT1_, .Lfunc_end27-_ZN9rocsparseL16conjugate_kernelILj256Ei21rocsparse_complex_numIdEEEvT0_PT1_
                                        ; -- End function
	.set _ZN9rocsparseL16conjugate_kernelILj256Ei21rocsparse_complex_numIdEEEvT0_PT1_.num_vgpr, 4
	.set _ZN9rocsparseL16conjugate_kernelILj256Ei21rocsparse_complex_numIdEEEvT0_PT1_.num_agpr, 0
	.set _ZN9rocsparseL16conjugate_kernelILj256Ei21rocsparse_complex_numIdEEEvT0_PT1_.numbered_sgpr, 7
	.set _ZN9rocsparseL16conjugate_kernelILj256Ei21rocsparse_complex_numIdEEEvT0_PT1_.num_named_barrier, 0
	.set _ZN9rocsparseL16conjugate_kernelILj256Ei21rocsparse_complex_numIdEEEvT0_PT1_.private_seg_size, 0
	.set _ZN9rocsparseL16conjugate_kernelILj256Ei21rocsparse_complex_numIdEEEvT0_PT1_.uses_vcc, 1
	.set _ZN9rocsparseL16conjugate_kernelILj256Ei21rocsparse_complex_numIdEEEvT0_PT1_.uses_flat_scratch, 0
	.set _ZN9rocsparseL16conjugate_kernelILj256Ei21rocsparse_complex_numIdEEEvT0_PT1_.has_dyn_sized_stack, 0
	.set _ZN9rocsparseL16conjugate_kernelILj256Ei21rocsparse_complex_numIdEEEvT0_PT1_.has_recursion, 0
	.set _ZN9rocsparseL16conjugate_kernelILj256Ei21rocsparse_complex_numIdEEEvT0_PT1_.has_indirect_call, 0
	.section	.AMDGPU.csdata,"",@progbits
; Kernel info:
; codeLenInByte = 100
; TotalNumSgprs: 11
; NumVgprs: 4
; ScratchSize: 0
; MemoryBound: 0
; FloatMode: 240
; IeeeMode: 1
; LDSByteSize: 0 bytes/workgroup (compile time only)
; SGPRBlocks: 1
; VGPRBlocks: 0
; NumSGPRsForWavesPerEU: 11
; NumVGPRsForWavesPerEU: 4
; Occupancy: 10
; WaveLimiterHint : 0
; COMPUTE_PGM_RSRC2:SCRATCH_EN: 0
; COMPUTE_PGM_RSRC2:USER_SGPR: 6
; COMPUTE_PGM_RSRC2:TRAP_HANDLER: 0
; COMPUTE_PGM_RSRC2:TGID_X_EN: 1
; COMPUTE_PGM_RSRC2:TGID_Y_EN: 0
; COMPUTE_PGM_RSRC2:TGID_Z_EN: 0
; COMPUTE_PGM_RSRC2:TIDIG_COMP_CNT: 0
	.section	.text._ZN9rocsparseL16conjugate_kernelILj256ElfEEvT0_PT1_,"axG",@progbits,_ZN9rocsparseL16conjugate_kernelILj256ElfEEvT0_PT1_,comdat
	.globl	_ZN9rocsparseL16conjugate_kernelILj256ElfEEvT0_PT1_ ; -- Begin function _ZN9rocsparseL16conjugate_kernelILj256ElfEEvT0_PT1_
	.p2align	8
	.type	_ZN9rocsparseL16conjugate_kernelILj256ElfEEvT0_PT1_,@function
_ZN9rocsparseL16conjugate_kernelILj256ElfEEvT0_PT1_: ; @_ZN9rocsparseL16conjugate_kernelILj256ElfEEvT0_PT1_
; %bb.0:
	s_endpgm
	.section	.rodata,"a",@progbits
	.p2align	6, 0x0
	.amdhsa_kernel _ZN9rocsparseL16conjugate_kernelILj256ElfEEvT0_PT1_
		.amdhsa_group_segment_fixed_size 0
		.amdhsa_private_segment_fixed_size 0
		.amdhsa_kernarg_size 16
		.amdhsa_user_sgpr_count 6
		.amdhsa_user_sgpr_private_segment_buffer 1
		.amdhsa_user_sgpr_dispatch_ptr 0
		.amdhsa_user_sgpr_queue_ptr 0
		.amdhsa_user_sgpr_kernarg_segment_ptr 1
		.amdhsa_user_sgpr_dispatch_id 0
		.amdhsa_user_sgpr_flat_scratch_init 0
		.amdhsa_user_sgpr_private_segment_size 0
		.amdhsa_uses_dynamic_stack 0
		.amdhsa_system_sgpr_private_segment_wavefront_offset 0
		.amdhsa_system_sgpr_workgroup_id_x 1
		.amdhsa_system_sgpr_workgroup_id_y 0
		.amdhsa_system_sgpr_workgroup_id_z 0
		.amdhsa_system_sgpr_workgroup_info 0
		.amdhsa_system_vgpr_workitem_id 0
		.amdhsa_next_free_vgpr 1
		.amdhsa_next_free_sgpr 0
		.amdhsa_reserve_vcc 0
		.amdhsa_reserve_flat_scratch 0
		.amdhsa_float_round_mode_32 0
		.amdhsa_float_round_mode_16_64 0
		.amdhsa_float_denorm_mode_32 3
		.amdhsa_float_denorm_mode_16_64 3
		.amdhsa_dx10_clamp 1
		.amdhsa_ieee_mode 1
		.amdhsa_fp16_overflow 0
		.amdhsa_exception_fp_ieee_invalid_op 0
		.amdhsa_exception_fp_denorm_src 0
		.amdhsa_exception_fp_ieee_div_zero 0
		.amdhsa_exception_fp_ieee_overflow 0
		.amdhsa_exception_fp_ieee_underflow 0
		.amdhsa_exception_fp_ieee_inexact 0
		.amdhsa_exception_int_div_zero 0
	.end_amdhsa_kernel
	.section	.text._ZN9rocsparseL16conjugate_kernelILj256ElfEEvT0_PT1_,"axG",@progbits,_ZN9rocsparseL16conjugate_kernelILj256ElfEEvT0_PT1_,comdat
.Lfunc_end28:
	.size	_ZN9rocsparseL16conjugate_kernelILj256ElfEEvT0_PT1_, .Lfunc_end28-_ZN9rocsparseL16conjugate_kernelILj256ElfEEvT0_PT1_
                                        ; -- End function
	.set _ZN9rocsparseL16conjugate_kernelILj256ElfEEvT0_PT1_.num_vgpr, 0
	.set _ZN9rocsparseL16conjugate_kernelILj256ElfEEvT0_PT1_.num_agpr, 0
	.set _ZN9rocsparseL16conjugate_kernelILj256ElfEEvT0_PT1_.numbered_sgpr, 0
	.set _ZN9rocsparseL16conjugate_kernelILj256ElfEEvT0_PT1_.num_named_barrier, 0
	.set _ZN9rocsparseL16conjugate_kernelILj256ElfEEvT0_PT1_.private_seg_size, 0
	.set _ZN9rocsparseL16conjugate_kernelILj256ElfEEvT0_PT1_.uses_vcc, 0
	.set _ZN9rocsparseL16conjugate_kernelILj256ElfEEvT0_PT1_.uses_flat_scratch, 0
	.set _ZN9rocsparseL16conjugate_kernelILj256ElfEEvT0_PT1_.has_dyn_sized_stack, 0
	.set _ZN9rocsparseL16conjugate_kernelILj256ElfEEvT0_PT1_.has_recursion, 0
	.set _ZN9rocsparseL16conjugate_kernelILj256ElfEEvT0_PT1_.has_indirect_call, 0
	.section	.AMDGPU.csdata,"",@progbits
; Kernel info:
; codeLenInByte = 4
; TotalNumSgprs: 4
; NumVgprs: 0
; ScratchSize: 0
; MemoryBound: 0
; FloatMode: 240
; IeeeMode: 1
; LDSByteSize: 0 bytes/workgroup (compile time only)
; SGPRBlocks: 0
; VGPRBlocks: 0
; NumSGPRsForWavesPerEU: 4
; NumVGPRsForWavesPerEU: 1
; Occupancy: 10
; WaveLimiterHint : 0
; COMPUTE_PGM_RSRC2:SCRATCH_EN: 0
; COMPUTE_PGM_RSRC2:USER_SGPR: 6
; COMPUTE_PGM_RSRC2:TRAP_HANDLER: 0
; COMPUTE_PGM_RSRC2:TGID_X_EN: 1
; COMPUTE_PGM_RSRC2:TGID_Y_EN: 0
; COMPUTE_PGM_RSRC2:TGID_Z_EN: 0
; COMPUTE_PGM_RSRC2:TIDIG_COMP_CNT: 0
	.section	.text._ZN9rocsparseL16conjugate_kernelILj256EldEEvT0_PT1_,"axG",@progbits,_ZN9rocsparseL16conjugate_kernelILj256EldEEvT0_PT1_,comdat
	.globl	_ZN9rocsparseL16conjugate_kernelILj256EldEEvT0_PT1_ ; -- Begin function _ZN9rocsparseL16conjugate_kernelILj256EldEEvT0_PT1_
	.p2align	8
	.type	_ZN9rocsparseL16conjugate_kernelILj256EldEEvT0_PT1_,@function
_ZN9rocsparseL16conjugate_kernelILj256EldEEvT0_PT1_: ; @_ZN9rocsparseL16conjugate_kernelILj256EldEEvT0_PT1_
; %bb.0:
	s_endpgm
	.section	.rodata,"a",@progbits
	.p2align	6, 0x0
	.amdhsa_kernel _ZN9rocsparseL16conjugate_kernelILj256EldEEvT0_PT1_
		.amdhsa_group_segment_fixed_size 0
		.amdhsa_private_segment_fixed_size 0
		.amdhsa_kernarg_size 16
		.amdhsa_user_sgpr_count 6
		.amdhsa_user_sgpr_private_segment_buffer 1
		.amdhsa_user_sgpr_dispatch_ptr 0
		.amdhsa_user_sgpr_queue_ptr 0
		.amdhsa_user_sgpr_kernarg_segment_ptr 1
		.amdhsa_user_sgpr_dispatch_id 0
		.amdhsa_user_sgpr_flat_scratch_init 0
		.amdhsa_user_sgpr_private_segment_size 0
		.amdhsa_uses_dynamic_stack 0
		.amdhsa_system_sgpr_private_segment_wavefront_offset 0
		.amdhsa_system_sgpr_workgroup_id_x 1
		.amdhsa_system_sgpr_workgroup_id_y 0
		.amdhsa_system_sgpr_workgroup_id_z 0
		.amdhsa_system_sgpr_workgroup_info 0
		.amdhsa_system_vgpr_workitem_id 0
		.amdhsa_next_free_vgpr 1
		.amdhsa_next_free_sgpr 0
		.amdhsa_reserve_vcc 0
		.amdhsa_reserve_flat_scratch 0
		.amdhsa_float_round_mode_32 0
		.amdhsa_float_round_mode_16_64 0
		.amdhsa_float_denorm_mode_32 3
		.amdhsa_float_denorm_mode_16_64 3
		.amdhsa_dx10_clamp 1
		.amdhsa_ieee_mode 1
		.amdhsa_fp16_overflow 0
		.amdhsa_exception_fp_ieee_invalid_op 0
		.amdhsa_exception_fp_denorm_src 0
		.amdhsa_exception_fp_ieee_div_zero 0
		.amdhsa_exception_fp_ieee_overflow 0
		.amdhsa_exception_fp_ieee_underflow 0
		.amdhsa_exception_fp_ieee_inexact 0
		.amdhsa_exception_int_div_zero 0
	.end_amdhsa_kernel
	.section	.text._ZN9rocsparseL16conjugate_kernelILj256EldEEvT0_PT1_,"axG",@progbits,_ZN9rocsparseL16conjugate_kernelILj256EldEEvT0_PT1_,comdat
.Lfunc_end29:
	.size	_ZN9rocsparseL16conjugate_kernelILj256EldEEvT0_PT1_, .Lfunc_end29-_ZN9rocsparseL16conjugate_kernelILj256EldEEvT0_PT1_
                                        ; -- End function
	.set _ZN9rocsparseL16conjugate_kernelILj256EldEEvT0_PT1_.num_vgpr, 0
	.set _ZN9rocsparseL16conjugate_kernelILj256EldEEvT0_PT1_.num_agpr, 0
	.set _ZN9rocsparseL16conjugate_kernelILj256EldEEvT0_PT1_.numbered_sgpr, 0
	.set _ZN9rocsparseL16conjugate_kernelILj256EldEEvT0_PT1_.num_named_barrier, 0
	.set _ZN9rocsparseL16conjugate_kernelILj256EldEEvT0_PT1_.private_seg_size, 0
	.set _ZN9rocsparseL16conjugate_kernelILj256EldEEvT0_PT1_.uses_vcc, 0
	.set _ZN9rocsparseL16conjugate_kernelILj256EldEEvT0_PT1_.uses_flat_scratch, 0
	.set _ZN9rocsparseL16conjugate_kernelILj256EldEEvT0_PT1_.has_dyn_sized_stack, 0
	.set _ZN9rocsparseL16conjugate_kernelILj256EldEEvT0_PT1_.has_recursion, 0
	.set _ZN9rocsparseL16conjugate_kernelILj256EldEEvT0_PT1_.has_indirect_call, 0
	.section	.AMDGPU.csdata,"",@progbits
; Kernel info:
; codeLenInByte = 4
; TotalNumSgprs: 4
; NumVgprs: 0
; ScratchSize: 0
; MemoryBound: 0
; FloatMode: 240
; IeeeMode: 1
; LDSByteSize: 0 bytes/workgroup (compile time only)
; SGPRBlocks: 0
; VGPRBlocks: 0
; NumSGPRsForWavesPerEU: 4
; NumVGPRsForWavesPerEU: 1
; Occupancy: 10
; WaveLimiterHint : 0
; COMPUTE_PGM_RSRC2:SCRATCH_EN: 0
; COMPUTE_PGM_RSRC2:USER_SGPR: 6
; COMPUTE_PGM_RSRC2:TRAP_HANDLER: 0
; COMPUTE_PGM_RSRC2:TGID_X_EN: 1
; COMPUTE_PGM_RSRC2:TGID_Y_EN: 0
; COMPUTE_PGM_RSRC2:TGID_Z_EN: 0
; COMPUTE_PGM_RSRC2:TIDIG_COMP_CNT: 0
	.section	.text._ZN9rocsparseL16conjugate_kernelILj256El21rocsparse_complex_numIfEEEvT0_PT1_,"axG",@progbits,_ZN9rocsparseL16conjugate_kernelILj256El21rocsparse_complex_numIfEEEvT0_PT1_,comdat
	.globl	_ZN9rocsparseL16conjugate_kernelILj256El21rocsparse_complex_numIfEEEvT0_PT1_ ; -- Begin function _ZN9rocsparseL16conjugate_kernelILj256El21rocsparse_complex_numIfEEEvT0_PT1_
	.p2align	8
	.type	_ZN9rocsparseL16conjugate_kernelILj256El21rocsparse_complex_numIfEEEvT0_PT1_,@function
_ZN9rocsparseL16conjugate_kernelILj256El21rocsparse_complex_numIfEEEvT0_PT1_: ; @_ZN9rocsparseL16conjugate_kernelILj256El21rocsparse_complex_numIfEEEvT0_PT1_
; %bb.0:
	s_load_dwordx4 s[0:3], s[4:5], 0x0
	v_lshl_or_b32 v0, s6, 8, v0
	v_mov_b32_e32 v1, 0
	s_waitcnt lgkmcnt(0)
	v_cmp_gt_i64_e32 vcc, s[0:1], v[0:1]
	s_and_saveexec_b64 s[0:1], vcc
	s_cbranch_execz .LBB30_2
; %bb.1:
	v_lshlrev_b64 v[0:1], 3, v[0:1]
	v_mov_b32_e32 v2, s3
	v_add_co_u32_e32 v0, vcc, s2, v0
	v_addc_co_u32_e32 v1, vcc, v2, v1, vcc
	global_load_dword v2, v[0:1], off offset:4
	s_waitcnt vmcnt(0)
	v_xor_b32_e32 v2, 0x80000000, v2
	global_store_dword v[0:1], v2, off offset:4
.LBB30_2:
	s_endpgm
	.section	.rodata,"a",@progbits
	.p2align	6, 0x0
	.amdhsa_kernel _ZN9rocsparseL16conjugate_kernelILj256El21rocsparse_complex_numIfEEEvT0_PT1_
		.amdhsa_group_segment_fixed_size 0
		.amdhsa_private_segment_fixed_size 0
		.amdhsa_kernarg_size 16
		.amdhsa_user_sgpr_count 6
		.amdhsa_user_sgpr_private_segment_buffer 1
		.amdhsa_user_sgpr_dispatch_ptr 0
		.amdhsa_user_sgpr_queue_ptr 0
		.amdhsa_user_sgpr_kernarg_segment_ptr 1
		.amdhsa_user_sgpr_dispatch_id 0
		.amdhsa_user_sgpr_flat_scratch_init 0
		.amdhsa_user_sgpr_private_segment_size 0
		.amdhsa_uses_dynamic_stack 0
		.amdhsa_system_sgpr_private_segment_wavefront_offset 0
		.amdhsa_system_sgpr_workgroup_id_x 1
		.amdhsa_system_sgpr_workgroup_id_y 0
		.amdhsa_system_sgpr_workgroup_id_z 0
		.amdhsa_system_sgpr_workgroup_info 0
		.amdhsa_system_vgpr_workitem_id 0
		.amdhsa_next_free_vgpr 3
		.amdhsa_next_free_sgpr 7
		.amdhsa_reserve_vcc 1
		.amdhsa_reserve_flat_scratch 0
		.amdhsa_float_round_mode_32 0
		.amdhsa_float_round_mode_16_64 0
		.amdhsa_float_denorm_mode_32 3
		.amdhsa_float_denorm_mode_16_64 3
		.amdhsa_dx10_clamp 1
		.amdhsa_ieee_mode 1
		.amdhsa_fp16_overflow 0
		.amdhsa_exception_fp_ieee_invalid_op 0
		.amdhsa_exception_fp_denorm_src 0
		.amdhsa_exception_fp_ieee_div_zero 0
		.amdhsa_exception_fp_ieee_overflow 0
		.amdhsa_exception_fp_ieee_underflow 0
		.amdhsa_exception_fp_ieee_inexact 0
		.amdhsa_exception_int_div_zero 0
	.end_amdhsa_kernel
	.section	.text._ZN9rocsparseL16conjugate_kernelILj256El21rocsparse_complex_numIfEEEvT0_PT1_,"axG",@progbits,_ZN9rocsparseL16conjugate_kernelILj256El21rocsparse_complex_numIfEEEvT0_PT1_,comdat
.Lfunc_end30:
	.size	_ZN9rocsparseL16conjugate_kernelILj256El21rocsparse_complex_numIfEEEvT0_PT1_, .Lfunc_end30-_ZN9rocsparseL16conjugate_kernelILj256El21rocsparse_complex_numIfEEEvT0_PT1_
                                        ; -- End function
	.set _ZN9rocsparseL16conjugate_kernelILj256El21rocsparse_complex_numIfEEEvT0_PT1_.num_vgpr, 3
	.set _ZN9rocsparseL16conjugate_kernelILj256El21rocsparse_complex_numIfEEEvT0_PT1_.num_agpr, 0
	.set _ZN9rocsparseL16conjugate_kernelILj256El21rocsparse_complex_numIfEEEvT0_PT1_.numbered_sgpr, 7
	.set _ZN9rocsparseL16conjugate_kernelILj256El21rocsparse_complex_numIfEEEvT0_PT1_.num_named_barrier, 0
	.set _ZN9rocsparseL16conjugate_kernelILj256El21rocsparse_complex_numIfEEEvT0_PT1_.private_seg_size, 0
	.set _ZN9rocsparseL16conjugate_kernelILj256El21rocsparse_complex_numIfEEEvT0_PT1_.uses_vcc, 1
	.set _ZN9rocsparseL16conjugate_kernelILj256El21rocsparse_complex_numIfEEEvT0_PT1_.uses_flat_scratch, 0
	.set _ZN9rocsparseL16conjugate_kernelILj256El21rocsparse_complex_numIfEEEvT0_PT1_.has_dyn_sized_stack, 0
	.set _ZN9rocsparseL16conjugate_kernelILj256El21rocsparse_complex_numIfEEEvT0_PT1_.has_recursion, 0
	.set _ZN9rocsparseL16conjugate_kernelILj256El21rocsparse_complex_numIfEEEvT0_PT1_.has_indirect_call, 0
	.section	.AMDGPU.csdata,"",@progbits
; Kernel info:
; codeLenInByte = 88
; TotalNumSgprs: 11
; NumVgprs: 3
; ScratchSize: 0
; MemoryBound: 0
; FloatMode: 240
; IeeeMode: 1
; LDSByteSize: 0 bytes/workgroup (compile time only)
; SGPRBlocks: 1
; VGPRBlocks: 0
; NumSGPRsForWavesPerEU: 11
; NumVGPRsForWavesPerEU: 3
; Occupancy: 10
; WaveLimiterHint : 0
; COMPUTE_PGM_RSRC2:SCRATCH_EN: 0
; COMPUTE_PGM_RSRC2:USER_SGPR: 6
; COMPUTE_PGM_RSRC2:TRAP_HANDLER: 0
; COMPUTE_PGM_RSRC2:TGID_X_EN: 1
; COMPUTE_PGM_RSRC2:TGID_Y_EN: 0
; COMPUTE_PGM_RSRC2:TGID_Z_EN: 0
; COMPUTE_PGM_RSRC2:TIDIG_COMP_CNT: 0
	.section	.text._ZN9rocsparseL16conjugate_kernelILj256El21rocsparse_complex_numIdEEEvT0_PT1_,"axG",@progbits,_ZN9rocsparseL16conjugate_kernelILj256El21rocsparse_complex_numIdEEEvT0_PT1_,comdat
	.globl	_ZN9rocsparseL16conjugate_kernelILj256El21rocsparse_complex_numIdEEEvT0_PT1_ ; -- Begin function _ZN9rocsparseL16conjugate_kernelILj256El21rocsparse_complex_numIdEEEvT0_PT1_
	.p2align	8
	.type	_ZN9rocsparseL16conjugate_kernelILj256El21rocsparse_complex_numIdEEEvT0_PT1_,@function
_ZN9rocsparseL16conjugate_kernelILj256El21rocsparse_complex_numIdEEEvT0_PT1_: ; @_ZN9rocsparseL16conjugate_kernelILj256El21rocsparse_complex_numIdEEEvT0_PT1_
; %bb.0:
	s_load_dwordx4 s[0:3], s[4:5], 0x0
	v_lshl_or_b32 v0, s6, 8, v0
	v_mov_b32_e32 v1, 0
	s_waitcnt lgkmcnt(0)
	v_cmp_gt_i64_e32 vcc, s[0:1], v[0:1]
	s_and_saveexec_b64 s[0:1], vcc
	s_cbranch_execz .LBB31_2
; %bb.1:
	v_lshlrev_b64 v[0:1], 4, v[0:1]
	v_mov_b32_e32 v2, s3
	v_add_co_u32_e32 v0, vcc, s2, v0
	v_addc_co_u32_e32 v1, vcc, v2, v1, vcc
	global_load_dwordx2 v[2:3], v[0:1], off offset:8
	s_waitcnt vmcnt(0)
	v_xor_b32_e32 v3, 0x80000000, v3
	global_store_dwordx2 v[0:1], v[2:3], off offset:8
.LBB31_2:
	s_endpgm
	.section	.rodata,"a",@progbits
	.p2align	6, 0x0
	.amdhsa_kernel _ZN9rocsparseL16conjugate_kernelILj256El21rocsparse_complex_numIdEEEvT0_PT1_
		.amdhsa_group_segment_fixed_size 0
		.amdhsa_private_segment_fixed_size 0
		.amdhsa_kernarg_size 16
		.amdhsa_user_sgpr_count 6
		.amdhsa_user_sgpr_private_segment_buffer 1
		.amdhsa_user_sgpr_dispatch_ptr 0
		.amdhsa_user_sgpr_queue_ptr 0
		.amdhsa_user_sgpr_kernarg_segment_ptr 1
		.amdhsa_user_sgpr_dispatch_id 0
		.amdhsa_user_sgpr_flat_scratch_init 0
		.amdhsa_user_sgpr_private_segment_size 0
		.amdhsa_uses_dynamic_stack 0
		.amdhsa_system_sgpr_private_segment_wavefront_offset 0
		.amdhsa_system_sgpr_workgroup_id_x 1
		.amdhsa_system_sgpr_workgroup_id_y 0
		.amdhsa_system_sgpr_workgroup_id_z 0
		.amdhsa_system_sgpr_workgroup_info 0
		.amdhsa_system_vgpr_workitem_id 0
		.amdhsa_next_free_vgpr 4
		.amdhsa_next_free_sgpr 7
		.amdhsa_reserve_vcc 1
		.amdhsa_reserve_flat_scratch 0
		.amdhsa_float_round_mode_32 0
		.amdhsa_float_round_mode_16_64 0
		.amdhsa_float_denorm_mode_32 3
		.amdhsa_float_denorm_mode_16_64 3
		.amdhsa_dx10_clamp 1
		.amdhsa_ieee_mode 1
		.amdhsa_fp16_overflow 0
		.amdhsa_exception_fp_ieee_invalid_op 0
		.amdhsa_exception_fp_denorm_src 0
		.amdhsa_exception_fp_ieee_div_zero 0
		.amdhsa_exception_fp_ieee_overflow 0
		.amdhsa_exception_fp_ieee_underflow 0
		.amdhsa_exception_fp_ieee_inexact 0
		.amdhsa_exception_int_div_zero 0
	.end_amdhsa_kernel
	.section	.text._ZN9rocsparseL16conjugate_kernelILj256El21rocsparse_complex_numIdEEEvT0_PT1_,"axG",@progbits,_ZN9rocsparseL16conjugate_kernelILj256El21rocsparse_complex_numIdEEEvT0_PT1_,comdat
.Lfunc_end31:
	.size	_ZN9rocsparseL16conjugate_kernelILj256El21rocsparse_complex_numIdEEEvT0_PT1_, .Lfunc_end31-_ZN9rocsparseL16conjugate_kernelILj256El21rocsparse_complex_numIdEEEvT0_PT1_
                                        ; -- End function
	.set _ZN9rocsparseL16conjugate_kernelILj256El21rocsparse_complex_numIdEEEvT0_PT1_.num_vgpr, 4
	.set _ZN9rocsparseL16conjugate_kernelILj256El21rocsparse_complex_numIdEEEvT0_PT1_.num_agpr, 0
	.set _ZN9rocsparseL16conjugate_kernelILj256El21rocsparse_complex_numIdEEEvT0_PT1_.numbered_sgpr, 7
	.set _ZN9rocsparseL16conjugate_kernelILj256El21rocsparse_complex_numIdEEEvT0_PT1_.num_named_barrier, 0
	.set _ZN9rocsparseL16conjugate_kernelILj256El21rocsparse_complex_numIdEEEvT0_PT1_.private_seg_size, 0
	.set _ZN9rocsparseL16conjugate_kernelILj256El21rocsparse_complex_numIdEEEvT0_PT1_.uses_vcc, 1
	.set _ZN9rocsparseL16conjugate_kernelILj256El21rocsparse_complex_numIdEEEvT0_PT1_.uses_flat_scratch, 0
	.set _ZN9rocsparseL16conjugate_kernelILj256El21rocsparse_complex_numIdEEEvT0_PT1_.has_dyn_sized_stack, 0
	.set _ZN9rocsparseL16conjugate_kernelILj256El21rocsparse_complex_numIdEEEvT0_PT1_.has_recursion, 0
	.set _ZN9rocsparseL16conjugate_kernelILj256El21rocsparse_complex_numIdEEEvT0_PT1_.has_indirect_call, 0
	.section	.AMDGPU.csdata,"",@progbits
; Kernel info:
; codeLenInByte = 88
; TotalNumSgprs: 11
; NumVgprs: 4
; ScratchSize: 0
; MemoryBound: 0
; FloatMode: 240
; IeeeMode: 1
; LDSByteSize: 0 bytes/workgroup (compile time only)
; SGPRBlocks: 1
; VGPRBlocks: 0
; NumSGPRsForWavesPerEU: 11
; NumVGPRsForWavesPerEU: 4
; Occupancy: 10
; WaveLimiterHint : 0
; COMPUTE_PGM_RSRC2:SCRATCH_EN: 0
; COMPUTE_PGM_RSRC2:USER_SGPR: 6
; COMPUTE_PGM_RSRC2:TRAP_HANDLER: 0
; COMPUTE_PGM_RSRC2:TGID_X_EN: 1
; COMPUTE_PGM_RSRC2:TGID_Y_EN: 0
; COMPUTE_PGM_RSRC2:TGID_Z_EN: 0
; COMPUTE_PGM_RSRC2:TIDIG_COMP_CNT: 0
	.section	.text._ZN9rocsparseL13valset_kernelILj256EiiEEvT0_T1_PS2_,"axG",@progbits,_ZN9rocsparseL13valset_kernelILj256EiiEEvT0_T1_PS2_,comdat
	.globl	_ZN9rocsparseL13valset_kernelILj256EiiEEvT0_T1_PS2_ ; -- Begin function _ZN9rocsparseL13valset_kernelILj256EiiEEvT0_T1_PS2_
	.p2align	8
	.type	_ZN9rocsparseL13valset_kernelILj256EiiEEvT0_T1_PS2_,@function
_ZN9rocsparseL13valset_kernelILj256EiiEEvT0_T1_PS2_: ; @_ZN9rocsparseL13valset_kernelILj256EiiEEvT0_T1_PS2_
; %bb.0:
	s_load_dwordx2 s[0:1], s[4:5], 0x0
	v_lshl_or_b32 v0, s6, 8, v0
	s_waitcnt lgkmcnt(0)
	v_cmp_gt_i32_e32 vcc, s0, v0
	s_and_saveexec_b64 s[2:3], vcc
	s_cbranch_execz .LBB32_2
; %bb.1:
	s_load_dwordx2 s[2:3], s[4:5], 0x8
	v_ashrrev_i32_e32 v1, 31, v0
	v_lshlrev_b64 v[0:1], 2, v[0:1]
	s_waitcnt lgkmcnt(0)
	v_mov_b32_e32 v2, s3
	v_add_co_u32_e32 v0, vcc, s2, v0
	v_addc_co_u32_e32 v1, vcc, v2, v1, vcc
	v_mov_b32_e32 v2, s1
	global_store_dword v[0:1], v2, off
.LBB32_2:
	s_endpgm
	.section	.rodata,"a",@progbits
	.p2align	6, 0x0
	.amdhsa_kernel _ZN9rocsparseL13valset_kernelILj256EiiEEvT0_T1_PS2_
		.amdhsa_group_segment_fixed_size 0
		.amdhsa_private_segment_fixed_size 0
		.amdhsa_kernarg_size 16
		.amdhsa_user_sgpr_count 6
		.amdhsa_user_sgpr_private_segment_buffer 1
		.amdhsa_user_sgpr_dispatch_ptr 0
		.amdhsa_user_sgpr_queue_ptr 0
		.amdhsa_user_sgpr_kernarg_segment_ptr 1
		.amdhsa_user_sgpr_dispatch_id 0
		.amdhsa_user_sgpr_flat_scratch_init 0
		.amdhsa_user_sgpr_private_segment_size 0
		.amdhsa_uses_dynamic_stack 0
		.amdhsa_system_sgpr_private_segment_wavefront_offset 0
		.amdhsa_system_sgpr_workgroup_id_x 1
		.amdhsa_system_sgpr_workgroup_id_y 0
		.amdhsa_system_sgpr_workgroup_id_z 0
		.amdhsa_system_sgpr_workgroup_info 0
		.amdhsa_system_vgpr_workitem_id 0
		.amdhsa_next_free_vgpr 3
		.amdhsa_next_free_sgpr 7
		.amdhsa_reserve_vcc 1
		.amdhsa_reserve_flat_scratch 0
		.amdhsa_float_round_mode_32 0
		.amdhsa_float_round_mode_16_64 0
		.amdhsa_float_denorm_mode_32 3
		.amdhsa_float_denorm_mode_16_64 3
		.amdhsa_dx10_clamp 1
		.amdhsa_ieee_mode 1
		.amdhsa_fp16_overflow 0
		.amdhsa_exception_fp_ieee_invalid_op 0
		.amdhsa_exception_fp_denorm_src 0
		.amdhsa_exception_fp_ieee_div_zero 0
		.amdhsa_exception_fp_ieee_overflow 0
		.amdhsa_exception_fp_ieee_underflow 0
		.amdhsa_exception_fp_ieee_inexact 0
		.amdhsa_exception_int_div_zero 0
	.end_amdhsa_kernel
	.section	.text._ZN9rocsparseL13valset_kernelILj256EiiEEvT0_T1_PS2_,"axG",@progbits,_ZN9rocsparseL13valset_kernelILj256EiiEEvT0_T1_PS2_,comdat
.Lfunc_end32:
	.size	_ZN9rocsparseL13valset_kernelILj256EiiEEvT0_T1_PS2_, .Lfunc_end32-_ZN9rocsparseL13valset_kernelILj256EiiEEvT0_T1_PS2_
                                        ; -- End function
	.set _ZN9rocsparseL13valset_kernelILj256EiiEEvT0_T1_PS2_.num_vgpr, 3
	.set _ZN9rocsparseL13valset_kernelILj256EiiEEvT0_T1_PS2_.num_agpr, 0
	.set _ZN9rocsparseL13valset_kernelILj256EiiEEvT0_T1_PS2_.numbered_sgpr, 7
	.set _ZN9rocsparseL13valset_kernelILj256EiiEEvT0_T1_PS2_.num_named_barrier, 0
	.set _ZN9rocsparseL13valset_kernelILj256EiiEEvT0_T1_PS2_.private_seg_size, 0
	.set _ZN9rocsparseL13valset_kernelILj256EiiEEvT0_T1_PS2_.uses_vcc, 1
	.set _ZN9rocsparseL13valset_kernelILj256EiiEEvT0_T1_PS2_.uses_flat_scratch, 0
	.set _ZN9rocsparseL13valset_kernelILj256EiiEEvT0_T1_PS2_.has_dyn_sized_stack, 0
	.set _ZN9rocsparseL13valset_kernelILj256EiiEEvT0_T1_PS2_.has_recursion, 0
	.set _ZN9rocsparseL13valset_kernelILj256EiiEEvT0_T1_PS2_.has_indirect_call, 0
	.section	.AMDGPU.csdata,"",@progbits
; Kernel info:
; codeLenInByte = 84
; TotalNumSgprs: 11
; NumVgprs: 3
; ScratchSize: 0
; MemoryBound: 0
; FloatMode: 240
; IeeeMode: 1
; LDSByteSize: 0 bytes/workgroup (compile time only)
; SGPRBlocks: 1
; VGPRBlocks: 0
; NumSGPRsForWavesPerEU: 11
; NumVGPRsForWavesPerEU: 3
; Occupancy: 10
; WaveLimiterHint : 0
; COMPUTE_PGM_RSRC2:SCRATCH_EN: 0
; COMPUTE_PGM_RSRC2:USER_SGPR: 6
; COMPUTE_PGM_RSRC2:TRAP_HANDLER: 0
; COMPUTE_PGM_RSRC2:TGID_X_EN: 1
; COMPUTE_PGM_RSRC2:TGID_Y_EN: 0
; COMPUTE_PGM_RSRC2:TGID_Z_EN: 0
; COMPUTE_PGM_RSRC2:TIDIG_COMP_CNT: 0
	.section	.text._ZN9rocsparseL13valset_kernelILj256EilEEvT0_T1_PS2_,"axG",@progbits,_ZN9rocsparseL13valset_kernelILj256EilEEvT0_T1_PS2_,comdat
	.globl	_ZN9rocsparseL13valset_kernelILj256EilEEvT0_T1_PS2_ ; -- Begin function _ZN9rocsparseL13valset_kernelILj256EilEEvT0_T1_PS2_
	.p2align	8
	.type	_ZN9rocsparseL13valset_kernelILj256EilEEvT0_T1_PS2_,@function
_ZN9rocsparseL13valset_kernelILj256EilEEvT0_T1_PS2_: ; @_ZN9rocsparseL13valset_kernelILj256EilEEvT0_T1_PS2_
; %bb.0:
	s_load_dword s0, s[4:5], 0x0
	v_lshl_or_b32 v0, s6, 8, v0
	s_waitcnt lgkmcnt(0)
	v_cmp_gt_i32_e32 vcc, s0, v0
	s_and_saveexec_b64 s[0:1], vcc
	s_cbranch_execz .LBB33_2
; %bb.1:
	s_load_dwordx4 s[0:3], s[4:5], 0x8
	v_ashrrev_i32_e32 v1, 31, v0
	v_lshlrev_b64 v[0:1], 3, v[0:1]
	s_waitcnt lgkmcnt(0)
	v_mov_b32_e32 v4, s3
	v_add_co_u32_e32 v0, vcc, s2, v0
	v_mov_b32_e32 v2, s0
	v_mov_b32_e32 v3, s1
	v_addc_co_u32_e32 v1, vcc, v4, v1, vcc
	global_store_dwordx2 v[0:1], v[2:3], off
.LBB33_2:
	s_endpgm
	.section	.rodata,"a",@progbits
	.p2align	6, 0x0
	.amdhsa_kernel _ZN9rocsparseL13valset_kernelILj256EilEEvT0_T1_PS2_
		.amdhsa_group_segment_fixed_size 0
		.amdhsa_private_segment_fixed_size 0
		.amdhsa_kernarg_size 24
		.amdhsa_user_sgpr_count 6
		.amdhsa_user_sgpr_private_segment_buffer 1
		.amdhsa_user_sgpr_dispatch_ptr 0
		.amdhsa_user_sgpr_queue_ptr 0
		.amdhsa_user_sgpr_kernarg_segment_ptr 1
		.amdhsa_user_sgpr_dispatch_id 0
		.amdhsa_user_sgpr_flat_scratch_init 0
		.amdhsa_user_sgpr_private_segment_size 0
		.amdhsa_uses_dynamic_stack 0
		.amdhsa_system_sgpr_private_segment_wavefront_offset 0
		.amdhsa_system_sgpr_workgroup_id_x 1
		.amdhsa_system_sgpr_workgroup_id_y 0
		.amdhsa_system_sgpr_workgroup_id_z 0
		.amdhsa_system_sgpr_workgroup_info 0
		.amdhsa_system_vgpr_workitem_id 0
		.amdhsa_next_free_vgpr 5
		.amdhsa_next_free_sgpr 7
		.amdhsa_reserve_vcc 1
		.amdhsa_reserve_flat_scratch 0
		.amdhsa_float_round_mode_32 0
		.amdhsa_float_round_mode_16_64 0
		.amdhsa_float_denorm_mode_32 3
		.amdhsa_float_denorm_mode_16_64 3
		.amdhsa_dx10_clamp 1
		.amdhsa_ieee_mode 1
		.amdhsa_fp16_overflow 0
		.amdhsa_exception_fp_ieee_invalid_op 0
		.amdhsa_exception_fp_denorm_src 0
		.amdhsa_exception_fp_ieee_div_zero 0
		.amdhsa_exception_fp_ieee_overflow 0
		.amdhsa_exception_fp_ieee_underflow 0
		.amdhsa_exception_fp_ieee_inexact 0
		.amdhsa_exception_int_div_zero 0
	.end_amdhsa_kernel
	.section	.text._ZN9rocsparseL13valset_kernelILj256EilEEvT0_T1_PS2_,"axG",@progbits,_ZN9rocsparseL13valset_kernelILj256EilEEvT0_T1_PS2_,comdat
.Lfunc_end33:
	.size	_ZN9rocsparseL13valset_kernelILj256EilEEvT0_T1_PS2_, .Lfunc_end33-_ZN9rocsparseL13valset_kernelILj256EilEEvT0_T1_PS2_
                                        ; -- End function
	.set _ZN9rocsparseL13valset_kernelILj256EilEEvT0_T1_PS2_.num_vgpr, 5
	.set _ZN9rocsparseL13valset_kernelILj256EilEEvT0_T1_PS2_.num_agpr, 0
	.set _ZN9rocsparseL13valset_kernelILj256EilEEvT0_T1_PS2_.numbered_sgpr, 7
	.set _ZN9rocsparseL13valset_kernelILj256EilEEvT0_T1_PS2_.num_named_barrier, 0
	.set _ZN9rocsparseL13valset_kernelILj256EilEEvT0_T1_PS2_.private_seg_size, 0
	.set _ZN9rocsparseL13valset_kernelILj256EilEEvT0_T1_PS2_.uses_vcc, 1
	.set _ZN9rocsparseL13valset_kernelILj256EilEEvT0_T1_PS2_.uses_flat_scratch, 0
	.set _ZN9rocsparseL13valset_kernelILj256EilEEvT0_T1_PS2_.has_dyn_sized_stack, 0
	.set _ZN9rocsparseL13valset_kernelILj256EilEEvT0_T1_PS2_.has_recursion, 0
	.set _ZN9rocsparseL13valset_kernelILj256EilEEvT0_T1_PS2_.has_indirect_call, 0
	.section	.AMDGPU.csdata,"",@progbits
; Kernel info:
; codeLenInByte = 88
; TotalNumSgprs: 11
; NumVgprs: 5
; ScratchSize: 0
; MemoryBound: 0
; FloatMode: 240
; IeeeMode: 1
; LDSByteSize: 0 bytes/workgroup (compile time only)
; SGPRBlocks: 1
; VGPRBlocks: 1
; NumSGPRsForWavesPerEU: 11
; NumVGPRsForWavesPerEU: 5
; Occupancy: 10
; WaveLimiterHint : 0
; COMPUTE_PGM_RSRC2:SCRATCH_EN: 0
; COMPUTE_PGM_RSRC2:USER_SGPR: 6
; COMPUTE_PGM_RSRC2:TRAP_HANDLER: 0
; COMPUTE_PGM_RSRC2:TGID_X_EN: 1
; COMPUTE_PGM_RSRC2:TGID_Y_EN: 0
; COMPUTE_PGM_RSRC2:TGID_Z_EN: 0
; COMPUTE_PGM_RSRC2:TIDIG_COMP_CNT: 0
	.section	.text._ZN9rocsparseL13valset_kernelILj256EliEEvT0_T1_PS2_,"axG",@progbits,_ZN9rocsparseL13valset_kernelILj256EliEEvT0_T1_PS2_,comdat
	.globl	_ZN9rocsparseL13valset_kernelILj256EliEEvT0_T1_PS2_ ; -- Begin function _ZN9rocsparseL13valset_kernelILj256EliEEvT0_T1_PS2_
	.p2align	8
	.type	_ZN9rocsparseL13valset_kernelILj256EliEEvT0_T1_PS2_,@function
_ZN9rocsparseL13valset_kernelILj256EliEEvT0_T1_PS2_: ; @_ZN9rocsparseL13valset_kernelILj256EliEEvT0_T1_PS2_
; %bb.0:
	s_load_dwordx2 s[0:1], s[4:5], 0x0
	v_lshl_or_b32 v0, s6, 8, v0
	v_mov_b32_e32 v1, 0
	s_waitcnt lgkmcnt(0)
	v_cmp_gt_i64_e32 vcc, s[0:1], v[0:1]
	s_and_saveexec_b64 s[0:1], vcc
	s_cbranch_execz .LBB34_2
; %bb.1:
	s_load_dwordx2 s[0:1], s[4:5], 0x10
	s_load_dword s2, s[4:5], 0x8
	v_lshlrev_b64 v[0:1], 2, v[0:1]
	s_waitcnt lgkmcnt(0)
	v_mov_b32_e32 v2, s1
	v_add_co_u32_e32 v0, vcc, s0, v0
	v_addc_co_u32_e32 v1, vcc, v2, v1, vcc
	v_mov_b32_e32 v2, s2
	global_store_dword v[0:1], v2, off
.LBB34_2:
	s_endpgm
	.section	.rodata,"a",@progbits
	.p2align	6, 0x0
	.amdhsa_kernel _ZN9rocsparseL13valset_kernelILj256EliEEvT0_T1_PS2_
		.amdhsa_group_segment_fixed_size 0
		.amdhsa_private_segment_fixed_size 0
		.amdhsa_kernarg_size 24
		.amdhsa_user_sgpr_count 6
		.amdhsa_user_sgpr_private_segment_buffer 1
		.amdhsa_user_sgpr_dispatch_ptr 0
		.amdhsa_user_sgpr_queue_ptr 0
		.amdhsa_user_sgpr_kernarg_segment_ptr 1
		.amdhsa_user_sgpr_dispatch_id 0
		.amdhsa_user_sgpr_flat_scratch_init 0
		.amdhsa_user_sgpr_private_segment_size 0
		.amdhsa_uses_dynamic_stack 0
		.amdhsa_system_sgpr_private_segment_wavefront_offset 0
		.amdhsa_system_sgpr_workgroup_id_x 1
		.amdhsa_system_sgpr_workgroup_id_y 0
		.amdhsa_system_sgpr_workgroup_id_z 0
		.amdhsa_system_sgpr_workgroup_info 0
		.amdhsa_system_vgpr_workitem_id 0
		.amdhsa_next_free_vgpr 3
		.amdhsa_next_free_sgpr 7
		.amdhsa_reserve_vcc 1
		.amdhsa_reserve_flat_scratch 0
		.amdhsa_float_round_mode_32 0
		.amdhsa_float_round_mode_16_64 0
		.amdhsa_float_denorm_mode_32 3
		.amdhsa_float_denorm_mode_16_64 3
		.amdhsa_dx10_clamp 1
		.amdhsa_ieee_mode 1
		.amdhsa_fp16_overflow 0
		.amdhsa_exception_fp_ieee_invalid_op 0
		.amdhsa_exception_fp_denorm_src 0
		.amdhsa_exception_fp_ieee_div_zero 0
		.amdhsa_exception_fp_ieee_overflow 0
		.amdhsa_exception_fp_ieee_underflow 0
		.amdhsa_exception_fp_ieee_inexact 0
		.amdhsa_exception_int_div_zero 0
	.end_amdhsa_kernel
	.section	.text._ZN9rocsparseL13valset_kernelILj256EliEEvT0_T1_PS2_,"axG",@progbits,_ZN9rocsparseL13valset_kernelILj256EliEEvT0_T1_PS2_,comdat
.Lfunc_end34:
	.size	_ZN9rocsparseL13valset_kernelILj256EliEEvT0_T1_PS2_, .Lfunc_end34-_ZN9rocsparseL13valset_kernelILj256EliEEvT0_T1_PS2_
                                        ; -- End function
	.set _ZN9rocsparseL13valset_kernelILj256EliEEvT0_T1_PS2_.num_vgpr, 3
	.set _ZN9rocsparseL13valset_kernelILj256EliEEvT0_T1_PS2_.num_agpr, 0
	.set _ZN9rocsparseL13valset_kernelILj256EliEEvT0_T1_PS2_.numbered_sgpr, 7
	.set _ZN9rocsparseL13valset_kernelILj256EliEEvT0_T1_PS2_.num_named_barrier, 0
	.set _ZN9rocsparseL13valset_kernelILj256EliEEvT0_T1_PS2_.private_seg_size, 0
	.set _ZN9rocsparseL13valset_kernelILj256EliEEvT0_T1_PS2_.uses_vcc, 1
	.set _ZN9rocsparseL13valset_kernelILj256EliEEvT0_T1_PS2_.uses_flat_scratch, 0
	.set _ZN9rocsparseL13valset_kernelILj256EliEEvT0_T1_PS2_.has_dyn_sized_stack, 0
	.set _ZN9rocsparseL13valset_kernelILj256EliEEvT0_T1_PS2_.has_recursion, 0
	.set _ZN9rocsparseL13valset_kernelILj256EliEEvT0_T1_PS2_.has_indirect_call, 0
	.section	.AMDGPU.csdata,"",@progbits
; Kernel info:
; codeLenInByte = 92
; TotalNumSgprs: 11
; NumVgprs: 3
; ScratchSize: 0
; MemoryBound: 0
; FloatMode: 240
; IeeeMode: 1
; LDSByteSize: 0 bytes/workgroup (compile time only)
; SGPRBlocks: 1
; VGPRBlocks: 0
; NumSGPRsForWavesPerEU: 11
; NumVGPRsForWavesPerEU: 3
; Occupancy: 10
; WaveLimiterHint : 0
; COMPUTE_PGM_RSRC2:SCRATCH_EN: 0
; COMPUTE_PGM_RSRC2:USER_SGPR: 6
; COMPUTE_PGM_RSRC2:TRAP_HANDLER: 0
; COMPUTE_PGM_RSRC2:TGID_X_EN: 1
; COMPUTE_PGM_RSRC2:TGID_Y_EN: 0
; COMPUTE_PGM_RSRC2:TGID_Z_EN: 0
; COMPUTE_PGM_RSRC2:TIDIG_COMP_CNT: 0
	.section	.text._ZN9rocsparseL13valset_kernelILj256EllEEvT0_T1_PS2_,"axG",@progbits,_ZN9rocsparseL13valset_kernelILj256EllEEvT0_T1_PS2_,comdat
	.globl	_ZN9rocsparseL13valset_kernelILj256EllEEvT0_T1_PS2_ ; -- Begin function _ZN9rocsparseL13valset_kernelILj256EllEEvT0_T1_PS2_
	.p2align	8
	.type	_ZN9rocsparseL13valset_kernelILj256EllEEvT0_T1_PS2_,@function
_ZN9rocsparseL13valset_kernelILj256EllEEvT0_T1_PS2_: ; @_ZN9rocsparseL13valset_kernelILj256EllEEvT0_T1_PS2_
; %bb.0:
	s_load_dwordx4 s[0:3], s[4:5], 0x0
	v_lshl_or_b32 v0, s6, 8, v0
	v_mov_b32_e32 v1, 0
	s_waitcnt lgkmcnt(0)
	v_cmp_gt_i64_e32 vcc, s[0:1], v[0:1]
	s_and_saveexec_b64 s[0:1], vcc
	s_cbranch_execz .LBB35_2
; %bb.1:
	s_load_dwordx2 s[0:1], s[4:5], 0x10
	v_lshlrev_b64 v[0:1], 3, v[0:1]
	v_mov_b32_e32 v2, s2
	v_mov_b32_e32 v3, s3
	s_waitcnt lgkmcnt(0)
	v_mov_b32_e32 v4, s1
	v_add_co_u32_e32 v0, vcc, s0, v0
	v_addc_co_u32_e32 v1, vcc, v4, v1, vcc
	global_store_dwordx2 v[0:1], v[2:3], off
.LBB35_2:
	s_endpgm
	.section	.rodata,"a",@progbits
	.p2align	6, 0x0
	.amdhsa_kernel _ZN9rocsparseL13valset_kernelILj256EllEEvT0_T1_PS2_
		.amdhsa_group_segment_fixed_size 0
		.amdhsa_private_segment_fixed_size 0
		.amdhsa_kernarg_size 24
		.amdhsa_user_sgpr_count 6
		.amdhsa_user_sgpr_private_segment_buffer 1
		.amdhsa_user_sgpr_dispatch_ptr 0
		.amdhsa_user_sgpr_queue_ptr 0
		.amdhsa_user_sgpr_kernarg_segment_ptr 1
		.amdhsa_user_sgpr_dispatch_id 0
		.amdhsa_user_sgpr_flat_scratch_init 0
		.amdhsa_user_sgpr_private_segment_size 0
		.amdhsa_uses_dynamic_stack 0
		.amdhsa_system_sgpr_private_segment_wavefront_offset 0
		.amdhsa_system_sgpr_workgroup_id_x 1
		.amdhsa_system_sgpr_workgroup_id_y 0
		.amdhsa_system_sgpr_workgroup_id_z 0
		.amdhsa_system_sgpr_workgroup_info 0
		.amdhsa_system_vgpr_workitem_id 0
		.amdhsa_next_free_vgpr 5
		.amdhsa_next_free_sgpr 7
		.amdhsa_reserve_vcc 1
		.amdhsa_reserve_flat_scratch 0
		.amdhsa_float_round_mode_32 0
		.amdhsa_float_round_mode_16_64 0
		.amdhsa_float_denorm_mode_32 3
		.amdhsa_float_denorm_mode_16_64 3
		.amdhsa_dx10_clamp 1
		.amdhsa_ieee_mode 1
		.amdhsa_fp16_overflow 0
		.amdhsa_exception_fp_ieee_invalid_op 0
		.amdhsa_exception_fp_denorm_src 0
		.amdhsa_exception_fp_ieee_div_zero 0
		.amdhsa_exception_fp_ieee_overflow 0
		.amdhsa_exception_fp_ieee_underflow 0
		.amdhsa_exception_fp_ieee_inexact 0
		.amdhsa_exception_int_div_zero 0
	.end_amdhsa_kernel
	.section	.text._ZN9rocsparseL13valset_kernelILj256EllEEvT0_T1_PS2_,"axG",@progbits,_ZN9rocsparseL13valset_kernelILj256EllEEvT0_T1_PS2_,comdat
.Lfunc_end35:
	.size	_ZN9rocsparseL13valset_kernelILj256EllEEvT0_T1_PS2_, .Lfunc_end35-_ZN9rocsparseL13valset_kernelILj256EllEEvT0_T1_PS2_
                                        ; -- End function
	.set _ZN9rocsparseL13valset_kernelILj256EllEEvT0_T1_PS2_.num_vgpr, 5
	.set _ZN9rocsparseL13valset_kernelILj256EllEEvT0_T1_PS2_.num_agpr, 0
	.set _ZN9rocsparseL13valset_kernelILj256EllEEvT0_T1_PS2_.numbered_sgpr, 7
	.set _ZN9rocsparseL13valset_kernelILj256EllEEvT0_T1_PS2_.num_named_barrier, 0
	.set _ZN9rocsparseL13valset_kernelILj256EllEEvT0_T1_PS2_.private_seg_size, 0
	.set _ZN9rocsparseL13valset_kernelILj256EllEEvT0_T1_PS2_.uses_vcc, 1
	.set _ZN9rocsparseL13valset_kernelILj256EllEEvT0_T1_PS2_.uses_flat_scratch, 0
	.set _ZN9rocsparseL13valset_kernelILj256EllEEvT0_T1_PS2_.has_dyn_sized_stack, 0
	.set _ZN9rocsparseL13valset_kernelILj256EllEEvT0_T1_PS2_.has_recursion, 0
	.set _ZN9rocsparseL13valset_kernelILj256EllEEvT0_T1_PS2_.has_indirect_call, 0
	.section	.AMDGPU.csdata,"",@progbits
; Kernel info:
; codeLenInByte = 88
; TotalNumSgprs: 11
; NumVgprs: 5
; ScratchSize: 0
; MemoryBound: 0
; FloatMode: 240
; IeeeMode: 1
; LDSByteSize: 0 bytes/workgroup (compile time only)
; SGPRBlocks: 1
; VGPRBlocks: 1
; NumSGPRsForWavesPerEU: 11
; NumVGPRsForWavesPerEU: 5
; Occupancy: 10
; WaveLimiterHint : 0
; COMPUTE_PGM_RSRC2:SCRATCH_EN: 0
; COMPUTE_PGM_RSRC2:USER_SGPR: 6
; COMPUTE_PGM_RSRC2:TRAP_HANDLER: 0
; COMPUTE_PGM_RSRC2:TGID_X_EN: 1
; COMPUTE_PGM_RSRC2:TGID_Y_EN: 0
; COMPUTE_PGM_RSRC2:TGID_Z_EN: 0
; COMPUTE_PGM_RSRC2:TIDIG_COMP_CNT: 0
	.section	.text._ZN9rocsparseL16valset_2d_kernelILj256EiDF16_EEvT0_S1_lT1_PS2_16rocsparse_order_,"axG",@progbits,_ZN9rocsparseL16valset_2d_kernelILj256EiDF16_EEvT0_S1_lT1_PS2_16rocsparse_order_,comdat
	.globl	_ZN9rocsparseL16valset_2d_kernelILj256EiDF16_EEvT0_S1_lT1_PS2_16rocsparse_order_ ; -- Begin function _ZN9rocsparseL16valset_2d_kernelILj256EiDF16_EEvT0_S1_lT1_PS2_16rocsparse_order_
	.p2align	8
	.type	_ZN9rocsparseL16valset_2d_kernelILj256EiDF16_EEvT0_S1_lT1_PS2_16rocsparse_order_,@function
_ZN9rocsparseL16valset_2d_kernelILj256EiDF16_EEvT0_S1_lT1_PS2_16rocsparse_order_: ; @_ZN9rocsparseL16valset_2d_kernelILj256EiDF16_EEvT0_S1_lT1_PS2_16rocsparse_order_
; %bb.0:
	s_load_dwordx2 s[0:1], s[4:5], 0x0
	v_lshl_or_b32 v0, s6, 8, v0
	s_waitcnt lgkmcnt(0)
	s_mul_i32 s2, s1, s0
	v_cmp_gt_i32_e32 vcc, s2, v0
	s_and_saveexec_b64 s[2:3], vcc
	s_cbranch_execz .LBB36_2
; %bb.1:
	s_load_dword s2, s[4:5], 0x20
	v_sub_u32_e32 v3, 0, v0
	v_max_i32_e32 v3, v0, v3
	s_waitcnt lgkmcnt(0)
	s_cmp_eq_u32 s2, 1
	s_cselect_b32 s6, s0, s1
	s_abs_i32 s7, s6
	v_cvt_f32_u32_e32 v1, s7
	s_sub_i32 s0, 0, s7
	v_xor_b32_e32 v4, s6, v0
	v_ashrrev_i32_e32 v4, 31, v4
	v_rcp_iflag_f32_e32 v1, v1
	v_mul_f32_e32 v1, 0x4f7ffffe, v1
	v_cvt_u32_f32_e32 v1, v1
	v_mul_lo_u32 v2, s0, v1
	s_load_dwordx2 s[0:1], s[4:5], 0x8
	s_load_dword s8, s[4:5], 0x10
	s_load_dwordx2 s[2:3], s[4:5], 0x18
	v_mul_hi_u32 v2, v1, v2
	s_waitcnt lgkmcnt(0)
	v_mov_b32_e32 v7, s3
	v_add_u32_e32 v1, v1, v2
	v_mul_hi_u32 v1, v3, v1
	v_mul_lo_u32 v2, v1, s7
	v_add_u32_e32 v5, 1, v1
	v_sub_u32_e32 v2, v3, v2
	v_cmp_le_u32_e32 vcc, s7, v2
	v_subrev_u32_e32 v3, s7, v2
	v_cndmask_b32_e32 v1, v1, v5, vcc
	v_cndmask_b32_e32 v2, v2, v3, vcc
	v_add_u32_e32 v3, 1, v1
	v_cmp_le_u32_e32 vcc, s7, v2
	v_cndmask_b32_e32 v1, v1, v3, vcc
	v_xor_b32_e32 v1, v1, v4
	v_sub_u32_e32 v1, v1, v4
	v_ashrrev_i32_e32 v4, 31, v1
	v_mul_lo_u32 v3, v1, s6
	v_mul_lo_u32 v5, s1, v1
	v_mad_u64_u32 v[1:2], s[4:5], s0, v1, 0
	v_mul_lo_u32 v6, s0, v4
	v_sub_u32_e32 v3, v0, v3
	v_ashrrev_i32_e32 v4, 31, v3
	v_add3_u32 v2, v2, v6, v5
	v_lshlrev_b64 v[0:1], 1, v[1:2]
	v_lshlrev_b64 v[2:3], 1, v[3:4]
	v_add_co_u32_e32 v0, vcc, s2, v0
	v_addc_co_u32_e32 v1, vcc, v7, v1, vcc
	v_add_co_u32_e32 v0, vcc, v0, v2
	v_addc_co_u32_e32 v1, vcc, v1, v3, vcc
	v_mov_b32_e32 v2, s8
	global_store_short v[0:1], v2, off
.LBB36_2:
	s_endpgm
	.section	.rodata,"a",@progbits
	.p2align	6, 0x0
	.amdhsa_kernel _ZN9rocsparseL16valset_2d_kernelILj256EiDF16_EEvT0_S1_lT1_PS2_16rocsparse_order_
		.amdhsa_group_segment_fixed_size 0
		.amdhsa_private_segment_fixed_size 0
		.amdhsa_kernarg_size 36
		.amdhsa_user_sgpr_count 6
		.amdhsa_user_sgpr_private_segment_buffer 1
		.amdhsa_user_sgpr_dispatch_ptr 0
		.amdhsa_user_sgpr_queue_ptr 0
		.amdhsa_user_sgpr_kernarg_segment_ptr 1
		.amdhsa_user_sgpr_dispatch_id 0
		.amdhsa_user_sgpr_flat_scratch_init 0
		.amdhsa_user_sgpr_private_segment_size 0
		.amdhsa_uses_dynamic_stack 0
		.amdhsa_system_sgpr_private_segment_wavefront_offset 0
		.amdhsa_system_sgpr_workgroup_id_x 1
		.amdhsa_system_sgpr_workgroup_id_y 0
		.amdhsa_system_sgpr_workgroup_id_z 0
		.amdhsa_system_sgpr_workgroup_info 0
		.amdhsa_system_vgpr_workitem_id 0
		.amdhsa_next_free_vgpr 8
		.amdhsa_next_free_sgpr 9
		.amdhsa_reserve_vcc 1
		.amdhsa_reserve_flat_scratch 0
		.amdhsa_float_round_mode_32 0
		.amdhsa_float_round_mode_16_64 0
		.amdhsa_float_denorm_mode_32 3
		.amdhsa_float_denorm_mode_16_64 3
		.amdhsa_dx10_clamp 1
		.amdhsa_ieee_mode 1
		.amdhsa_fp16_overflow 0
		.amdhsa_exception_fp_ieee_invalid_op 0
		.amdhsa_exception_fp_denorm_src 0
		.amdhsa_exception_fp_ieee_div_zero 0
		.amdhsa_exception_fp_ieee_overflow 0
		.amdhsa_exception_fp_ieee_underflow 0
		.amdhsa_exception_fp_ieee_inexact 0
		.amdhsa_exception_int_div_zero 0
	.end_amdhsa_kernel
	.section	.text._ZN9rocsparseL16valset_2d_kernelILj256EiDF16_EEvT0_S1_lT1_PS2_16rocsparse_order_,"axG",@progbits,_ZN9rocsparseL16valset_2d_kernelILj256EiDF16_EEvT0_S1_lT1_PS2_16rocsparse_order_,comdat
.Lfunc_end36:
	.size	_ZN9rocsparseL16valset_2d_kernelILj256EiDF16_EEvT0_S1_lT1_PS2_16rocsparse_order_, .Lfunc_end36-_ZN9rocsparseL16valset_2d_kernelILj256EiDF16_EEvT0_S1_lT1_PS2_16rocsparse_order_
                                        ; -- End function
	.set _ZN9rocsparseL16valset_2d_kernelILj256EiDF16_EEvT0_S1_lT1_PS2_16rocsparse_order_.num_vgpr, 8
	.set _ZN9rocsparseL16valset_2d_kernelILj256EiDF16_EEvT0_S1_lT1_PS2_16rocsparse_order_.num_agpr, 0
	.set _ZN9rocsparseL16valset_2d_kernelILj256EiDF16_EEvT0_S1_lT1_PS2_16rocsparse_order_.numbered_sgpr, 9
	.set _ZN9rocsparseL16valset_2d_kernelILj256EiDF16_EEvT0_S1_lT1_PS2_16rocsparse_order_.num_named_barrier, 0
	.set _ZN9rocsparseL16valset_2d_kernelILj256EiDF16_EEvT0_S1_lT1_PS2_16rocsparse_order_.private_seg_size, 0
	.set _ZN9rocsparseL16valset_2d_kernelILj256EiDF16_EEvT0_S1_lT1_PS2_16rocsparse_order_.uses_vcc, 1
	.set _ZN9rocsparseL16valset_2d_kernelILj256EiDF16_EEvT0_S1_lT1_PS2_16rocsparse_order_.uses_flat_scratch, 0
	.set _ZN9rocsparseL16valset_2d_kernelILj256EiDF16_EEvT0_S1_lT1_PS2_16rocsparse_order_.has_dyn_sized_stack, 0
	.set _ZN9rocsparseL16valset_2d_kernelILj256EiDF16_EEvT0_S1_lT1_PS2_16rocsparse_order_.has_recursion, 0
	.set _ZN9rocsparseL16valset_2d_kernelILj256EiDF16_EEvT0_S1_lT1_PS2_16rocsparse_order_.has_indirect_call, 0
	.section	.AMDGPU.csdata,"",@progbits
; Kernel info:
; codeLenInByte = 312
; TotalNumSgprs: 13
; NumVgprs: 8
; ScratchSize: 0
; MemoryBound: 0
; FloatMode: 240
; IeeeMode: 1
; LDSByteSize: 0 bytes/workgroup (compile time only)
; SGPRBlocks: 1
; VGPRBlocks: 1
; NumSGPRsForWavesPerEU: 13
; NumVGPRsForWavesPerEU: 8
; Occupancy: 10
; WaveLimiterHint : 0
; COMPUTE_PGM_RSRC2:SCRATCH_EN: 0
; COMPUTE_PGM_RSRC2:USER_SGPR: 6
; COMPUTE_PGM_RSRC2:TRAP_HANDLER: 0
; COMPUTE_PGM_RSRC2:TGID_X_EN: 1
; COMPUTE_PGM_RSRC2:TGID_Y_EN: 0
; COMPUTE_PGM_RSRC2:TGID_Z_EN: 0
; COMPUTE_PGM_RSRC2:TIDIG_COMP_CNT: 0
	.section	.text._ZN9rocsparseL16valset_2d_kernelILj256Ei18rocsparse_bfloat16EEvT0_S2_lT1_PS3_16rocsparse_order_,"axG",@progbits,_ZN9rocsparseL16valset_2d_kernelILj256Ei18rocsparse_bfloat16EEvT0_S2_lT1_PS3_16rocsparse_order_,comdat
	.globl	_ZN9rocsparseL16valset_2d_kernelILj256Ei18rocsparse_bfloat16EEvT0_S2_lT1_PS3_16rocsparse_order_ ; -- Begin function _ZN9rocsparseL16valset_2d_kernelILj256Ei18rocsparse_bfloat16EEvT0_S2_lT1_PS3_16rocsparse_order_
	.p2align	8
	.type	_ZN9rocsparseL16valset_2d_kernelILj256Ei18rocsparse_bfloat16EEvT0_S2_lT1_PS3_16rocsparse_order_,@function
_ZN9rocsparseL16valset_2d_kernelILj256Ei18rocsparse_bfloat16EEvT0_S2_lT1_PS3_16rocsparse_order_: ; @_ZN9rocsparseL16valset_2d_kernelILj256Ei18rocsparse_bfloat16EEvT0_S2_lT1_PS3_16rocsparse_order_
; %bb.0:
	s_load_dwordx2 s[0:1], s[4:5], 0x0
	v_lshl_or_b32 v0, s6, 8, v0
	s_waitcnt lgkmcnt(0)
	s_mul_i32 s2, s1, s0
	v_cmp_gt_i32_e32 vcc, s2, v0
	s_and_saveexec_b64 s[2:3], vcc
	s_cbranch_execz .LBB37_2
; %bb.1:
	s_load_dword s2, s[4:5], 0x20
	v_sub_u32_e32 v3, 0, v0
	v_max_i32_e32 v3, v0, v3
	s_waitcnt lgkmcnt(0)
	s_cmp_eq_u32 s2, 1
	s_cselect_b32 s6, s0, s1
	s_abs_i32 s7, s6
	v_cvt_f32_u32_e32 v1, s7
	s_sub_i32 s0, 0, s7
	v_xor_b32_e32 v4, s6, v0
	v_ashrrev_i32_e32 v4, 31, v4
	v_rcp_iflag_f32_e32 v1, v1
	v_mul_f32_e32 v1, 0x4f7ffffe, v1
	v_cvt_u32_f32_e32 v1, v1
	v_mul_lo_u32 v2, s0, v1
	s_load_dwordx2 s[0:1], s[4:5], 0x8
	s_load_dword s8, s[4:5], 0x10
	s_load_dwordx2 s[2:3], s[4:5], 0x18
	v_mul_hi_u32 v2, v1, v2
	s_waitcnt lgkmcnt(0)
	v_mov_b32_e32 v7, s3
	v_add_u32_e32 v1, v1, v2
	v_mul_hi_u32 v1, v3, v1
	v_mul_lo_u32 v2, v1, s7
	v_add_u32_e32 v5, 1, v1
	v_sub_u32_e32 v2, v3, v2
	v_cmp_le_u32_e32 vcc, s7, v2
	v_subrev_u32_e32 v3, s7, v2
	v_cndmask_b32_e32 v1, v1, v5, vcc
	v_cndmask_b32_e32 v2, v2, v3, vcc
	v_add_u32_e32 v3, 1, v1
	v_cmp_le_u32_e32 vcc, s7, v2
	v_cndmask_b32_e32 v1, v1, v3, vcc
	v_xor_b32_e32 v1, v1, v4
	v_sub_u32_e32 v1, v1, v4
	v_ashrrev_i32_e32 v4, 31, v1
	v_mul_lo_u32 v3, v1, s6
	v_mul_lo_u32 v5, s1, v1
	v_mad_u64_u32 v[1:2], s[4:5], s0, v1, 0
	v_mul_lo_u32 v6, s0, v4
	v_sub_u32_e32 v3, v0, v3
	v_ashrrev_i32_e32 v4, 31, v3
	v_add3_u32 v2, v2, v6, v5
	v_lshlrev_b64 v[0:1], 1, v[1:2]
	v_lshlrev_b64 v[2:3], 1, v[3:4]
	v_add_co_u32_e32 v0, vcc, s2, v0
	v_addc_co_u32_e32 v1, vcc, v7, v1, vcc
	v_add_co_u32_e32 v0, vcc, v0, v2
	v_addc_co_u32_e32 v1, vcc, v1, v3, vcc
	v_mov_b32_e32 v2, s8
	global_store_short v[0:1], v2, off
.LBB37_2:
	s_endpgm
	.section	.rodata,"a",@progbits
	.p2align	6, 0x0
	.amdhsa_kernel _ZN9rocsparseL16valset_2d_kernelILj256Ei18rocsparse_bfloat16EEvT0_S2_lT1_PS3_16rocsparse_order_
		.amdhsa_group_segment_fixed_size 0
		.amdhsa_private_segment_fixed_size 0
		.amdhsa_kernarg_size 36
		.amdhsa_user_sgpr_count 6
		.amdhsa_user_sgpr_private_segment_buffer 1
		.amdhsa_user_sgpr_dispatch_ptr 0
		.amdhsa_user_sgpr_queue_ptr 0
		.amdhsa_user_sgpr_kernarg_segment_ptr 1
		.amdhsa_user_sgpr_dispatch_id 0
		.amdhsa_user_sgpr_flat_scratch_init 0
		.amdhsa_user_sgpr_private_segment_size 0
		.amdhsa_uses_dynamic_stack 0
		.amdhsa_system_sgpr_private_segment_wavefront_offset 0
		.amdhsa_system_sgpr_workgroup_id_x 1
		.amdhsa_system_sgpr_workgroup_id_y 0
		.amdhsa_system_sgpr_workgroup_id_z 0
		.amdhsa_system_sgpr_workgroup_info 0
		.amdhsa_system_vgpr_workitem_id 0
		.amdhsa_next_free_vgpr 8
		.amdhsa_next_free_sgpr 9
		.amdhsa_reserve_vcc 1
		.amdhsa_reserve_flat_scratch 0
		.amdhsa_float_round_mode_32 0
		.amdhsa_float_round_mode_16_64 0
		.amdhsa_float_denorm_mode_32 3
		.amdhsa_float_denorm_mode_16_64 3
		.amdhsa_dx10_clamp 1
		.amdhsa_ieee_mode 1
		.amdhsa_fp16_overflow 0
		.amdhsa_exception_fp_ieee_invalid_op 0
		.amdhsa_exception_fp_denorm_src 0
		.amdhsa_exception_fp_ieee_div_zero 0
		.amdhsa_exception_fp_ieee_overflow 0
		.amdhsa_exception_fp_ieee_underflow 0
		.amdhsa_exception_fp_ieee_inexact 0
		.amdhsa_exception_int_div_zero 0
	.end_amdhsa_kernel
	.section	.text._ZN9rocsparseL16valset_2d_kernelILj256Ei18rocsparse_bfloat16EEvT0_S2_lT1_PS3_16rocsparse_order_,"axG",@progbits,_ZN9rocsparseL16valset_2d_kernelILj256Ei18rocsparse_bfloat16EEvT0_S2_lT1_PS3_16rocsparse_order_,comdat
.Lfunc_end37:
	.size	_ZN9rocsparseL16valset_2d_kernelILj256Ei18rocsparse_bfloat16EEvT0_S2_lT1_PS3_16rocsparse_order_, .Lfunc_end37-_ZN9rocsparseL16valset_2d_kernelILj256Ei18rocsparse_bfloat16EEvT0_S2_lT1_PS3_16rocsparse_order_
                                        ; -- End function
	.set _ZN9rocsparseL16valset_2d_kernelILj256Ei18rocsparse_bfloat16EEvT0_S2_lT1_PS3_16rocsparse_order_.num_vgpr, 8
	.set _ZN9rocsparseL16valset_2d_kernelILj256Ei18rocsparse_bfloat16EEvT0_S2_lT1_PS3_16rocsparse_order_.num_agpr, 0
	.set _ZN9rocsparseL16valset_2d_kernelILj256Ei18rocsparse_bfloat16EEvT0_S2_lT1_PS3_16rocsparse_order_.numbered_sgpr, 9
	.set _ZN9rocsparseL16valset_2d_kernelILj256Ei18rocsparse_bfloat16EEvT0_S2_lT1_PS3_16rocsparse_order_.num_named_barrier, 0
	.set _ZN9rocsparseL16valset_2d_kernelILj256Ei18rocsparse_bfloat16EEvT0_S2_lT1_PS3_16rocsparse_order_.private_seg_size, 0
	.set _ZN9rocsparseL16valset_2d_kernelILj256Ei18rocsparse_bfloat16EEvT0_S2_lT1_PS3_16rocsparse_order_.uses_vcc, 1
	.set _ZN9rocsparseL16valset_2d_kernelILj256Ei18rocsparse_bfloat16EEvT0_S2_lT1_PS3_16rocsparse_order_.uses_flat_scratch, 0
	.set _ZN9rocsparseL16valset_2d_kernelILj256Ei18rocsparse_bfloat16EEvT0_S2_lT1_PS3_16rocsparse_order_.has_dyn_sized_stack, 0
	.set _ZN9rocsparseL16valset_2d_kernelILj256Ei18rocsparse_bfloat16EEvT0_S2_lT1_PS3_16rocsparse_order_.has_recursion, 0
	.set _ZN9rocsparseL16valset_2d_kernelILj256Ei18rocsparse_bfloat16EEvT0_S2_lT1_PS3_16rocsparse_order_.has_indirect_call, 0
	.section	.AMDGPU.csdata,"",@progbits
; Kernel info:
; codeLenInByte = 312
; TotalNumSgprs: 13
; NumVgprs: 8
; ScratchSize: 0
; MemoryBound: 0
; FloatMode: 240
; IeeeMode: 1
; LDSByteSize: 0 bytes/workgroup (compile time only)
; SGPRBlocks: 1
; VGPRBlocks: 1
; NumSGPRsForWavesPerEU: 13
; NumVGPRsForWavesPerEU: 8
; Occupancy: 10
; WaveLimiterHint : 0
; COMPUTE_PGM_RSRC2:SCRATCH_EN: 0
; COMPUTE_PGM_RSRC2:USER_SGPR: 6
; COMPUTE_PGM_RSRC2:TRAP_HANDLER: 0
; COMPUTE_PGM_RSRC2:TGID_X_EN: 1
; COMPUTE_PGM_RSRC2:TGID_Y_EN: 0
; COMPUTE_PGM_RSRC2:TGID_Z_EN: 0
; COMPUTE_PGM_RSRC2:TIDIG_COMP_CNT: 0
	.section	.text._ZN9rocsparseL16valset_2d_kernelILj256EifEEvT0_S1_lT1_PS2_16rocsparse_order_,"axG",@progbits,_ZN9rocsparseL16valset_2d_kernelILj256EifEEvT0_S1_lT1_PS2_16rocsparse_order_,comdat
	.globl	_ZN9rocsparseL16valset_2d_kernelILj256EifEEvT0_S1_lT1_PS2_16rocsparse_order_ ; -- Begin function _ZN9rocsparseL16valset_2d_kernelILj256EifEEvT0_S1_lT1_PS2_16rocsparse_order_
	.p2align	8
	.type	_ZN9rocsparseL16valset_2d_kernelILj256EifEEvT0_S1_lT1_PS2_16rocsparse_order_,@function
_ZN9rocsparseL16valset_2d_kernelILj256EifEEvT0_S1_lT1_PS2_16rocsparse_order_: ; @_ZN9rocsparseL16valset_2d_kernelILj256EifEEvT0_S1_lT1_PS2_16rocsparse_order_
; %bb.0:
	s_load_dwordx2 s[0:1], s[4:5], 0x0
	v_lshl_or_b32 v0, s6, 8, v0
	s_waitcnt lgkmcnt(0)
	s_mul_i32 s2, s1, s0
	v_cmp_gt_i32_e32 vcc, s2, v0
	s_and_saveexec_b64 s[2:3], vcc
	s_cbranch_execz .LBB38_2
; %bb.1:
	s_load_dword s2, s[4:5], 0x20
	v_sub_u32_e32 v3, 0, v0
	v_max_i32_e32 v3, v0, v3
	s_waitcnt lgkmcnt(0)
	s_cmp_eq_u32 s2, 1
	s_cselect_b32 s6, s0, s1
	s_abs_i32 s7, s6
	v_cvt_f32_u32_e32 v1, s7
	s_sub_i32 s0, 0, s7
	v_xor_b32_e32 v4, s6, v0
	v_ashrrev_i32_e32 v4, 31, v4
	v_rcp_iflag_f32_e32 v1, v1
	v_mul_f32_e32 v1, 0x4f7ffffe, v1
	v_cvt_u32_f32_e32 v1, v1
	v_mul_lo_u32 v2, s0, v1
	s_load_dwordx2 s[0:1], s[4:5], 0x8
	s_load_dword s8, s[4:5], 0x10
	s_load_dwordx2 s[2:3], s[4:5], 0x18
	v_mul_hi_u32 v2, v1, v2
	s_waitcnt lgkmcnt(0)
	v_mov_b32_e32 v7, s3
	v_add_u32_e32 v1, v1, v2
	v_mul_hi_u32 v1, v3, v1
	v_mul_lo_u32 v2, v1, s7
	v_add_u32_e32 v5, 1, v1
	v_sub_u32_e32 v2, v3, v2
	v_cmp_le_u32_e32 vcc, s7, v2
	v_subrev_u32_e32 v3, s7, v2
	v_cndmask_b32_e32 v1, v1, v5, vcc
	v_cndmask_b32_e32 v2, v2, v3, vcc
	v_add_u32_e32 v3, 1, v1
	v_cmp_le_u32_e32 vcc, s7, v2
	v_cndmask_b32_e32 v1, v1, v3, vcc
	v_xor_b32_e32 v1, v1, v4
	v_sub_u32_e32 v1, v1, v4
	v_ashrrev_i32_e32 v4, 31, v1
	v_mul_lo_u32 v3, v1, s6
	v_mul_lo_u32 v5, s1, v1
	v_mad_u64_u32 v[1:2], s[4:5], s0, v1, 0
	v_mul_lo_u32 v6, s0, v4
	v_sub_u32_e32 v3, v0, v3
	v_ashrrev_i32_e32 v4, 31, v3
	v_add3_u32 v2, v2, v6, v5
	v_lshlrev_b64 v[0:1], 2, v[1:2]
	v_lshlrev_b64 v[2:3], 2, v[3:4]
	v_add_co_u32_e32 v0, vcc, s2, v0
	v_addc_co_u32_e32 v1, vcc, v7, v1, vcc
	v_add_co_u32_e32 v0, vcc, v0, v2
	v_addc_co_u32_e32 v1, vcc, v1, v3, vcc
	v_mov_b32_e32 v2, s8
	global_store_dword v[0:1], v2, off
.LBB38_2:
	s_endpgm
	.section	.rodata,"a",@progbits
	.p2align	6, 0x0
	.amdhsa_kernel _ZN9rocsparseL16valset_2d_kernelILj256EifEEvT0_S1_lT1_PS2_16rocsparse_order_
		.amdhsa_group_segment_fixed_size 0
		.amdhsa_private_segment_fixed_size 0
		.amdhsa_kernarg_size 36
		.amdhsa_user_sgpr_count 6
		.amdhsa_user_sgpr_private_segment_buffer 1
		.amdhsa_user_sgpr_dispatch_ptr 0
		.amdhsa_user_sgpr_queue_ptr 0
		.amdhsa_user_sgpr_kernarg_segment_ptr 1
		.amdhsa_user_sgpr_dispatch_id 0
		.amdhsa_user_sgpr_flat_scratch_init 0
		.amdhsa_user_sgpr_private_segment_size 0
		.amdhsa_uses_dynamic_stack 0
		.amdhsa_system_sgpr_private_segment_wavefront_offset 0
		.amdhsa_system_sgpr_workgroup_id_x 1
		.amdhsa_system_sgpr_workgroup_id_y 0
		.amdhsa_system_sgpr_workgroup_id_z 0
		.amdhsa_system_sgpr_workgroup_info 0
		.amdhsa_system_vgpr_workitem_id 0
		.amdhsa_next_free_vgpr 8
		.amdhsa_next_free_sgpr 9
		.amdhsa_reserve_vcc 1
		.amdhsa_reserve_flat_scratch 0
		.amdhsa_float_round_mode_32 0
		.amdhsa_float_round_mode_16_64 0
		.amdhsa_float_denorm_mode_32 3
		.amdhsa_float_denorm_mode_16_64 3
		.amdhsa_dx10_clamp 1
		.amdhsa_ieee_mode 1
		.amdhsa_fp16_overflow 0
		.amdhsa_exception_fp_ieee_invalid_op 0
		.amdhsa_exception_fp_denorm_src 0
		.amdhsa_exception_fp_ieee_div_zero 0
		.amdhsa_exception_fp_ieee_overflow 0
		.amdhsa_exception_fp_ieee_underflow 0
		.amdhsa_exception_fp_ieee_inexact 0
		.amdhsa_exception_int_div_zero 0
	.end_amdhsa_kernel
	.section	.text._ZN9rocsparseL16valset_2d_kernelILj256EifEEvT0_S1_lT1_PS2_16rocsparse_order_,"axG",@progbits,_ZN9rocsparseL16valset_2d_kernelILj256EifEEvT0_S1_lT1_PS2_16rocsparse_order_,comdat
.Lfunc_end38:
	.size	_ZN9rocsparseL16valset_2d_kernelILj256EifEEvT0_S1_lT1_PS2_16rocsparse_order_, .Lfunc_end38-_ZN9rocsparseL16valset_2d_kernelILj256EifEEvT0_S1_lT1_PS2_16rocsparse_order_
                                        ; -- End function
	.set _ZN9rocsparseL16valset_2d_kernelILj256EifEEvT0_S1_lT1_PS2_16rocsparse_order_.num_vgpr, 8
	.set _ZN9rocsparseL16valset_2d_kernelILj256EifEEvT0_S1_lT1_PS2_16rocsparse_order_.num_agpr, 0
	.set _ZN9rocsparseL16valset_2d_kernelILj256EifEEvT0_S1_lT1_PS2_16rocsparse_order_.numbered_sgpr, 9
	.set _ZN9rocsparseL16valset_2d_kernelILj256EifEEvT0_S1_lT1_PS2_16rocsparse_order_.num_named_barrier, 0
	.set _ZN9rocsparseL16valset_2d_kernelILj256EifEEvT0_S1_lT1_PS2_16rocsparse_order_.private_seg_size, 0
	.set _ZN9rocsparseL16valset_2d_kernelILj256EifEEvT0_S1_lT1_PS2_16rocsparse_order_.uses_vcc, 1
	.set _ZN9rocsparseL16valset_2d_kernelILj256EifEEvT0_S1_lT1_PS2_16rocsparse_order_.uses_flat_scratch, 0
	.set _ZN9rocsparseL16valset_2d_kernelILj256EifEEvT0_S1_lT1_PS2_16rocsparse_order_.has_dyn_sized_stack, 0
	.set _ZN9rocsparseL16valset_2d_kernelILj256EifEEvT0_S1_lT1_PS2_16rocsparse_order_.has_recursion, 0
	.set _ZN9rocsparseL16valset_2d_kernelILj256EifEEvT0_S1_lT1_PS2_16rocsparse_order_.has_indirect_call, 0
	.section	.AMDGPU.csdata,"",@progbits
; Kernel info:
; codeLenInByte = 312
; TotalNumSgprs: 13
; NumVgprs: 8
; ScratchSize: 0
; MemoryBound: 0
; FloatMode: 240
; IeeeMode: 1
; LDSByteSize: 0 bytes/workgroup (compile time only)
; SGPRBlocks: 1
; VGPRBlocks: 1
; NumSGPRsForWavesPerEU: 13
; NumVGPRsForWavesPerEU: 8
; Occupancy: 10
; WaveLimiterHint : 0
; COMPUTE_PGM_RSRC2:SCRATCH_EN: 0
; COMPUTE_PGM_RSRC2:USER_SGPR: 6
; COMPUTE_PGM_RSRC2:TRAP_HANDLER: 0
; COMPUTE_PGM_RSRC2:TGID_X_EN: 1
; COMPUTE_PGM_RSRC2:TGID_Y_EN: 0
; COMPUTE_PGM_RSRC2:TGID_Z_EN: 0
; COMPUTE_PGM_RSRC2:TIDIG_COMP_CNT: 0
	.section	.text._ZN9rocsparseL16valset_2d_kernelILj256EidEEvT0_S1_lT1_PS2_16rocsparse_order_,"axG",@progbits,_ZN9rocsparseL16valset_2d_kernelILj256EidEEvT0_S1_lT1_PS2_16rocsparse_order_,comdat
	.globl	_ZN9rocsparseL16valset_2d_kernelILj256EidEEvT0_S1_lT1_PS2_16rocsparse_order_ ; -- Begin function _ZN9rocsparseL16valset_2d_kernelILj256EidEEvT0_S1_lT1_PS2_16rocsparse_order_
	.p2align	8
	.type	_ZN9rocsparseL16valset_2d_kernelILj256EidEEvT0_S1_lT1_PS2_16rocsparse_order_,@function
_ZN9rocsparseL16valset_2d_kernelILj256EidEEvT0_S1_lT1_PS2_16rocsparse_order_: ; @_ZN9rocsparseL16valset_2d_kernelILj256EidEEvT0_S1_lT1_PS2_16rocsparse_order_
; %bb.0:
	s_load_dwordx2 s[0:1], s[4:5], 0x0
	v_lshl_or_b32 v0, s6, 8, v0
	s_waitcnt lgkmcnt(0)
	s_mul_i32 s2, s1, s0
	v_cmp_gt_i32_e32 vcc, s2, v0
	s_and_saveexec_b64 s[2:3], vcc
	s_cbranch_execz .LBB39_2
; %bb.1:
	s_load_dword s2, s[4:5], 0x20
	v_sub_u32_e32 v3, 0, v0
	v_max_i32_e32 v3, v0, v3
	s_waitcnt lgkmcnt(0)
	s_cmp_eq_u32 s2, 1
	s_cselect_b32 s6, s0, s1
	s_abs_i32 s7, s6
	v_cvt_f32_u32_e32 v1, s7
	s_sub_i32 s0, 0, s7
	v_xor_b32_e32 v6, s6, v0
	v_ashrrev_i32_e32 v6, 31, v6
	v_rcp_iflag_f32_e32 v1, v1
	v_mul_f32_e32 v1, 0x4f7ffffe, v1
	v_cvt_u32_f32_e32 v1, v1
	v_mul_lo_u32 v2, s0, v1
	s_load_dwordx4 s[0:3], s[4:5], 0x8
	v_mul_hi_u32 v2, v1, v2
	s_load_dwordx2 s[4:5], s[4:5], 0x18
	v_add_u32_e32 v1, v1, v2
	v_mul_hi_u32 v4, v3, v1
	s_waitcnt lgkmcnt(0)
	v_mov_b32_e32 v1, s2
	v_mov_b32_e32 v2, s3
	;; [unrolled: 1-line block ×3, first 2 shown]
	v_mul_lo_u32 v5, v4, s7
	v_add_u32_e32 v7, 1, v4
	v_sub_u32_e32 v3, v3, v5
	v_cmp_le_u32_e32 vcc, s7, v3
	v_subrev_u32_e32 v5, s7, v3
	v_cndmask_b32_e32 v4, v4, v7, vcc
	v_cndmask_b32_e32 v3, v3, v5, vcc
	v_add_u32_e32 v5, 1, v4
	v_cmp_le_u32_e32 vcc, s7, v3
	v_cndmask_b32_e32 v3, v4, v5, vcc
	v_xor_b32_e32 v3, v3, v6
	v_sub_u32_e32 v3, v3, v6
	v_ashrrev_i32_e32 v6, 31, v3
	v_mul_lo_u32 v5, v3, s6
	v_mul_lo_u32 v7, s1, v3
	v_mad_u64_u32 v[3:4], s[2:3], s0, v3, 0
	v_mul_lo_u32 v8, s0, v6
	v_sub_u32_e32 v5, v0, v5
	v_ashrrev_i32_e32 v6, 31, v5
	v_lshlrev_b64 v[5:6], 3, v[5:6]
	v_add3_u32 v4, v4, v8, v7
	v_lshlrev_b64 v[3:4], 3, v[3:4]
	v_add_co_u32_e32 v0, vcc, s4, v3
	v_addc_co_u32_e32 v4, vcc, v9, v4, vcc
	v_add_co_u32_e32 v3, vcc, v0, v5
	v_addc_co_u32_e32 v4, vcc, v4, v6, vcc
	global_store_dwordx2 v[3:4], v[1:2], off
.LBB39_2:
	s_endpgm
	.section	.rodata,"a",@progbits
	.p2align	6, 0x0
	.amdhsa_kernel _ZN9rocsparseL16valset_2d_kernelILj256EidEEvT0_S1_lT1_PS2_16rocsparse_order_
		.amdhsa_group_segment_fixed_size 0
		.amdhsa_private_segment_fixed_size 0
		.amdhsa_kernarg_size 36
		.amdhsa_user_sgpr_count 6
		.amdhsa_user_sgpr_private_segment_buffer 1
		.amdhsa_user_sgpr_dispatch_ptr 0
		.amdhsa_user_sgpr_queue_ptr 0
		.amdhsa_user_sgpr_kernarg_segment_ptr 1
		.amdhsa_user_sgpr_dispatch_id 0
		.amdhsa_user_sgpr_flat_scratch_init 0
		.amdhsa_user_sgpr_private_segment_size 0
		.amdhsa_uses_dynamic_stack 0
		.amdhsa_system_sgpr_private_segment_wavefront_offset 0
		.amdhsa_system_sgpr_workgroup_id_x 1
		.amdhsa_system_sgpr_workgroup_id_y 0
		.amdhsa_system_sgpr_workgroup_id_z 0
		.amdhsa_system_sgpr_workgroup_info 0
		.amdhsa_system_vgpr_workitem_id 0
		.amdhsa_next_free_vgpr 10
		.amdhsa_next_free_sgpr 8
		.amdhsa_reserve_vcc 1
		.amdhsa_reserve_flat_scratch 0
		.amdhsa_float_round_mode_32 0
		.amdhsa_float_round_mode_16_64 0
		.amdhsa_float_denorm_mode_32 3
		.amdhsa_float_denorm_mode_16_64 3
		.amdhsa_dx10_clamp 1
		.amdhsa_ieee_mode 1
		.amdhsa_fp16_overflow 0
		.amdhsa_exception_fp_ieee_invalid_op 0
		.amdhsa_exception_fp_denorm_src 0
		.amdhsa_exception_fp_ieee_div_zero 0
		.amdhsa_exception_fp_ieee_overflow 0
		.amdhsa_exception_fp_ieee_underflow 0
		.amdhsa_exception_fp_ieee_inexact 0
		.amdhsa_exception_int_div_zero 0
	.end_amdhsa_kernel
	.section	.text._ZN9rocsparseL16valset_2d_kernelILj256EidEEvT0_S1_lT1_PS2_16rocsparse_order_,"axG",@progbits,_ZN9rocsparseL16valset_2d_kernelILj256EidEEvT0_S1_lT1_PS2_16rocsparse_order_,comdat
.Lfunc_end39:
	.size	_ZN9rocsparseL16valset_2d_kernelILj256EidEEvT0_S1_lT1_PS2_16rocsparse_order_, .Lfunc_end39-_ZN9rocsparseL16valset_2d_kernelILj256EidEEvT0_S1_lT1_PS2_16rocsparse_order_
                                        ; -- End function
	.set _ZN9rocsparseL16valset_2d_kernelILj256EidEEvT0_S1_lT1_PS2_16rocsparse_order_.num_vgpr, 10
	.set _ZN9rocsparseL16valset_2d_kernelILj256EidEEvT0_S1_lT1_PS2_16rocsparse_order_.num_agpr, 0
	.set _ZN9rocsparseL16valset_2d_kernelILj256EidEEvT0_S1_lT1_PS2_16rocsparse_order_.numbered_sgpr, 8
	.set _ZN9rocsparseL16valset_2d_kernelILj256EidEEvT0_S1_lT1_PS2_16rocsparse_order_.num_named_barrier, 0
	.set _ZN9rocsparseL16valset_2d_kernelILj256EidEEvT0_S1_lT1_PS2_16rocsparse_order_.private_seg_size, 0
	.set _ZN9rocsparseL16valset_2d_kernelILj256EidEEvT0_S1_lT1_PS2_16rocsparse_order_.uses_vcc, 1
	.set _ZN9rocsparseL16valset_2d_kernelILj256EidEEvT0_S1_lT1_PS2_16rocsparse_order_.uses_flat_scratch, 0
	.set _ZN9rocsparseL16valset_2d_kernelILj256EidEEvT0_S1_lT1_PS2_16rocsparse_order_.has_dyn_sized_stack, 0
	.set _ZN9rocsparseL16valset_2d_kernelILj256EidEEvT0_S1_lT1_PS2_16rocsparse_order_.has_recursion, 0
	.set _ZN9rocsparseL16valset_2d_kernelILj256EidEEvT0_S1_lT1_PS2_16rocsparse_order_.has_indirect_call, 0
	.section	.AMDGPU.csdata,"",@progbits
; Kernel info:
; codeLenInByte = 308
; TotalNumSgprs: 12
; NumVgprs: 10
; ScratchSize: 0
; MemoryBound: 0
; FloatMode: 240
; IeeeMode: 1
; LDSByteSize: 0 bytes/workgroup (compile time only)
; SGPRBlocks: 1
; VGPRBlocks: 2
; NumSGPRsForWavesPerEU: 12
; NumVGPRsForWavesPerEU: 10
; Occupancy: 10
; WaveLimiterHint : 0
; COMPUTE_PGM_RSRC2:SCRATCH_EN: 0
; COMPUTE_PGM_RSRC2:USER_SGPR: 6
; COMPUTE_PGM_RSRC2:TRAP_HANDLER: 0
; COMPUTE_PGM_RSRC2:TGID_X_EN: 1
; COMPUTE_PGM_RSRC2:TGID_Y_EN: 0
; COMPUTE_PGM_RSRC2:TGID_Z_EN: 0
; COMPUTE_PGM_RSRC2:TIDIG_COMP_CNT: 0
	.section	.text._ZN9rocsparseL16valset_2d_kernelILj256Ei21rocsparse_complex_numIfEEEvT0_S3_lT1_PS4_16rocsparse_order_,"axG",@progbits,_ZN9rocsparseL16valset_2d_kernelILj256Ei21rocsparse_complex_numIfEEEvT0_S3_lT1_PS4_16rocsparse_order_,comdat
	.globl	_ZN9rocsparseL16valset_2d_kernelILj256Ei21rocsparse_complex_numIfEEEvT0_S3_lT1_PS4_16rocsparse_order_ ; -- Begin function _ZN9rocsparseL16valset_2d_kernelILj256Ei21rocsparse_complex_numIfEEEvT0_S3_lT1_PS4_16rocsparse_order_
	.p2align	8
	.type	_ZN9rocsparseL16valset_2d_kernelILj256Ei21rocsparse_complex_numIfEEEvT0_S3_lT1_PS4_16rocsparse_order_,@function
_ZN9rocsparseL16valset_2d_kernelILj256Ei21rocsparse_complex_numIfEEEvT0_S3_lT1_PS4_16rocsparse_order_: ; @_ZN9rocsparseL16valset_2d_kernelILj256Ei21rocsparse_complex_numIfEEEvT0_S3_lT1_PS4_16rocsparse_order_
; %bb.0:
	s_load_dwordx2 s[0:1], s[4:5], 0x0
	v_lshl_or_b32 v0, s6, 8, v0
	s_waitcnt lgkmcnt(0)
	s_mul_i32 s2, s1, s0
	v_cmp_gt_i32_e32 vcc, s2, v0
	s_and_saveexec_b64 s[2:3], vcc
	s_cbranch_execz .LBB40_2
; %bb.1:
	s_load_dword s2, s[4:5], 0x20
	v_sub_u32_e32 v3, 0, v0
	v_max_i32_e32 v3, v0, v3
	s_waitcnt lgkmcnt(0)
	s_cmp_eq_u32 s2, 1
	s_cselect_b32 s8, s0, s1
	s_abs_i32 s9, s8
	v_cvt_f32_u32_e32 v1, s9
	s_sub_i32 s0, 0, s9
	v_xor_b32_e32 v4, s8, v0
	v_ashrrev_i32_e32 v4, 31, v4
	v_rcp_iflag_f32_e32 v1, v1
	v_mul_f32_e32 v1, 0x4f7ffffe, v1
	v_cvt_u32_f32_e32 v1, v1
	v_mul_lo_u32 v2, s0, v1
	s_load_dwordx4 s[0:3], s[4:5], 0x8
	s_load_dwordx2 s[6:7], s[4:5], 0x18
	v_mul_hi_u32 v2, v1, v2
	s_waitcnt lgkmcnt(0)
	v_mov_b32_e32 v7, s7
	v_add_u32_e32 v1, v1, v2
	v_mul_hi_u32 v1, v3, v1
	v_mul_lo_u32 v2, v1, s9
	v_add_u32_e32 v5, 1, v1
	v_sub_u32_e32 v2, v3, v2
	v_cmp_le_u32_e32 vcc, s9, v2
	v_subrev_u32_e32 v3, s9, v2
	v_cndmask_b32_e32 v1, v1, v5, vcc
	v_cndmask_b32_e32 v2, v2, v3, vcc
	v_add_u32_e32 v3, 1, v1
	v_cmp_le_u32_e32 vcc, s9, v2
	v_cndmask_b32_e32 v1, v1, v3, vcc
	v_xor_b32_e32 v1, v1, v4
	v_sub_u32_e32 v1, v1, v4
	v_ashrrev_i32_e32 v4, 31, v1
	v_mul_lo_u32 v3, v1, s8
	v_mul_lo_u32 v5, s1, v1
	v_mad_u64_u32 v[1:2], s[4:5], s0, v1, 0
	v_mul_lo_u32 v6, s0, v4
	v_sub_u32_e32 v3, v0, v3
	v_ashrrev_i32_e32 v4, 31, v3
	v_add3_u32 v2, v2, v6, v5
	v_lshlrev_b64 v[0:1], 3, v[1:2]
	v_lshlrev_b64 v[2:3], 3, v[3:4]
	v_add_co_u32_e32 v0, vcc, s6, v0
	v_addc_co_u32_e32 v1, vcc, v7, v1, vcc
	v_add_co_u32_e32 v0, vcc, v0, v2
	v_addc_co_u32_e32 v1, vcc, v1, v3, vcc
	v_mov_b32_e32 v2, s2
	v_mov_b32_e32 v3, s3
	global_store_dwordx2 v[0:1], v[2:3], off
.LBB40_2:
	s_endpgm
	.section	.rodata,"a",@progbits
	.p2align	6, 0x0
	.amdhsa_kernel _ZN9rocsparseL16valset_2d_kernelILj256Ei21rocsparse_complex_numIfEEEvT0_S3_lT1_PS4_16rocsparse_order_
		.amdhsa_group_segment_fixed_size 0
		.amdhsa_private_segment_fixed_size 0
		.amdhsa_kernarg_size 36
		.amdhsa_user_sgpr_count 6
		.amdhsa_user_sgpr_private_segment_buffer 1
		.amdhsa_user_sgpr_dispatch_ptr 0
		.amdhsa_user_sgpr_queue_ptr 0
		.amdhsa_user_sgpr_kernarg_segment_ptr 1
		.amdhsa_user_sgpr_dispatch_id 0
		.amdhsa_user_sgpr_flat_scratch_init 0
		.amdhsa_user_sgpr_private_segment_size 0
		.amdhsa_uses_dynamic_stack 0
		.amdhsa_system_sgpr_private_segment_wavefront_offset 0
		.amdhsa_system_sgpr_workgroup_id_x 1
		.amdhsa_system_sgpr_workgroup_id_y 0
		.amdhsa_system_sgpr_workgroup_id_z 0
		.amdhsa_system_sgpr_workgroup_info 0
		.amdhsa_system_vgpr_workitem_id 0
		.amdhsa_next_free_vgpr 8
		.amdhsa_next_free_sgpr 10
		.amdhsa_reserve_vcc 1
		.amdhsa_reserve_flat_scratch 0
		.amdhsa_float_round_mode_32 0
		.amdhsa_float_round_mode_16_64 0
		.amdhsa_float_denorm_mode_32 3
		.amdhsa_float_denorm_mode_16_64 3
		.amdhsa_dx10_clamp 1
		.amdhsa_ieee_mode 1
		.amdhsa_fp16_overflow 0
		.amdhsa_exception_fp_ieee_invalid_op 0
		.amdhsa_exception_fp_denorm_src 0
		.amdhsa_exception_fp_ieee_div_zero 0
		.amdhsa_exception_fp_ieee_overflow 0
		.amdhsa_exception_fp_ieee_underflow 0
		.amdhsa_exception_fp_ieee_inexact 0
		.amdhsa_exception_int_div_zero 0
	.end_amdhsa_kernel
	.section	.text._ZN9rocsparseL16valset_2d_kernelILj256Ei21rocsparse_complex_numIfEEEvT0_S3_lT1_PS4_16rocsparse_order_,"axG",@progbits,_ZN9rocsparseL16valset_2d_kernelILj256Ei21rocsparse_complex_numIfEEEvT0_S3_lT1_PS4_16rocsparse_order_,comdat
.Lfunc_end40:
	.size	_ZN9rocsparseL16valset_2d_kernelILj256Ei21rocsparse_complex_numIfEEEvT0_S3_lT1_PS4_16rocsparse_order_, .Lfunc_end40-_ZN9rocsparseL16valset_2d_kernelILj256Ei21rocsparse_complex_numIfEEEvT0_S3_lT1_PS4_16rocsparse_order_
                                        ; -- End function
	.set _ZN9rocsparseL16valset_2d_kernelILj256Ei21rocsparse_complex_numIfEEEvT0_S3_lT1_PS4_16rocsparse_order_.num_vgpr, 8
	.set _ZN9rocsparseL16valset_2d_kernelILj256Ei21rocsparse_complex_numIfEEEvT0_S3_lT1_PS4_16rocsparse_order_.num_agpr, 0
	.set _ZN9rocsparseL16valset_2d_kernelILj256Ei21rocsparse_complex_numIfEEEvT0_S3_lT1_PS4_16rocsparse_order_.numbered_sgpr, 10
	.set _ZN9rocsparseL16valset_2d_kernelILj256Ei21rocsparse_complex_numIfEEEvT0_S3_lT1_PS4_16rocsparse_order_.num_named_barrier, 0
	.set _ZN9rocsparseL16valset_2d_kernelILj256Ei21rocsparse_complex_numIfEEEvT0_S3_lT1_PS4_16rocsparse_order_.private_seg_size, 0
	.set _ZN9rocsparseL16valset_2d_kernelILj256Ei21rocsparse_complex_numIfEEEvT0_S3_lT1_PS4_16rocsparse_order_.uses_vcc, 1
	.set _ZN9rocsparseL16valset_2d_kernelILj256Ei21rocsparse_complex_numIfEEEvT0_S3_lT1_PS4_16rocsparse_order_.uses_flat_scratch, 0
	.set _ZN9rocsparseL16valset_2d_kernelILj256Ei21rocsparse_complex_numIfEEEvT0_S3_lT1_PS4_16rocsparse_order_.has_dyn_sized_stack, 0
	.set _ZN9rocsparseL16valset_2d_kernelILj256Ei21rocsparse_complex_numIfEEEvT0_S3_lT1_PS4_16rocsparse_order_.has_recursion, 0
	.set _ZN9rocsparseL16valset_2d_kernelILj256Ei21rocsparse_complex_numIfEEEvT0_S3_lT1_PS4_16rocsparse_order_.has_indirect_call, 0
	.section	.AMDGPU.csdata,"",@progbits
; Kernel info:
; codeLenInByte = 308
; TotalNumSgprs: 14
; NumVgprs: 8
; ScratchSize: 0
; MemoryBound: 0
; FloatMode: 240
; IeeeMode: 1
; LDSByteSize: 0 bytes/workgroup (compile time only)
; SGPRBlocks: 1
; VGPRBlocks: 1
; NumSGPRsForWavesPerEU: 14
; NumVGPRsForWavesPerEU: 8
; Occupancy: 10
; WaveLimiterHint : 0
; COMPUTE_PGM_RSRC2:SCRATCH_EN: 0
; COMPUTE_PGM_RSRC2:USER_SGPR: 6
; COMPUTE_PGM_RSRC2:TRAP_HANDLER: 0
; COMPUTE_PGM_RSRC2:TGID_X_EN: 1
; COMPUTE_PGM_RSRC2:TGID_Y_EN: 0
; COMPUTE_PGM_RSRC2:TGID_Z_EN: 0
; COMPUTE_PGM_RSRC2:TIDIG_COMP_CNT: 0
	.section	.text._ZN9rocsparseL16valset_2d_kernelILj256Ei21rocsparse_complex_numIdEEEvT0_S3_lT1_PS4_16rocsparse_order_,"axG",@progbits,_ZN9rocsparseL16valset_2d_kernelILj256Ei21rocsparse_complex_numIdEEEvT0_S3_lT1_PS4_16rocsparse_order_,comdat
	.globl	_ZN9rocsparseL16valset_2d_kernelILj256Ei21rocsparse_complex_numIdEEEvT0_S3_lT1_PS4_16rocsparse_order_ ; -- Begin function _ZN9rocsparseL16valset_2d_kernelILj256Ei21rocsparse_complex_numIdEEEvT0_S3_lT1_PS4_16rocsparse_order_
	.p2align	8
	.type	_ZN9rocsparseL16valset_2d_kernelILj256Ei21rocsparse_complex_numIdEEEvT0_S3_lT1_PS4_16rocsparse_order_,@function
_ZN9rocsparseL16valset_2d_kernelILj256Ei21rocsparse_complex_numIdEEEvT0_S3_lT1_PS4_16rocsparse_order_: ; @_ZN9rocsparseL16valset_2d_kernelILj256Ei21rocsparse_complex_numIdEEEvT0_S3_lT1_PS4_16rocsparse_order_
; %bb.0:
	s_load_dwordx2 s[0:1], s[4:5], 0x0
	v_lshl_or_b32 v0, s6, 8, v0
	s_waitcnt lgkmcnt(0)
	s_mul_i32 s2, s1, s0
	v_cmp_gt_i32_e32 vcc, s2, v0
	s_and_saveexec_b64 s[2:3], vcc
	s_cbranch_execz .LBB41_2
; %bb.1:
	s_load_dword s2, s[4:5], 0x28
	v_sub_u32_e32 v3, 0, v0
	v_max_i32_e32 v3, v0, v3
	s_waitcnt lgkmcnt(0)
	s_cmp_eq_u32 s2, 1
	s_cselect_b32 s10, s0, s1
	s_abs_i32 s11, s10
	v_cvt_f32_u32_e32 v1, s11
	s_sub_i32 s0, 0, s11
	v_xor_b32_e32 v4, s10, v0
	v_ashrrev_i32_e32 v4, 31, v4
	v_rcp_iflag_f32_e32 v1, v1
	v_mul_f32_e32 v1, 0x4f7ffffe, v1
	v_cvt_u32_f32_e32 v1, v1
	v_mul_lo_u32 v2, s0, v1
	s_load_dwordx2 s[6:7], s[4:5], 0x20
	s_load_dwordx2 s[8:9], s[4:5], 0x8
	s_load_dwordx4 s[0:3], s[4:5], 0x10
	s_waitcnt lgkmcnt(0)
	v_mov_b32_e32 v7, s7
	v_mul_hi_u32 v2, v1, v2
	v_add_u32_e32 v1, v1, v2
	v_mul_hi_u32 v1, v3, v1
	v_mul_lo_u32 v2, v1, s11
	v_add_u32_e32 v5, 1, v1
	v_sub_u32_e32 v2, v3, v2
	v_cmp_le_u32_e32 vcc, s11, v2
	v_subrev_u32_e32 v3, s11, v2
	v_cndmask_b32_e32 v1, v1, v5, vcc
	v_cndmask_b32_e32 v2, v2, v3, vcc
	v_add_u32_e32 v3, 1, v1
	v_cmp_le_u32_e32 vcc, s11, v2
	v_cndmask_b32_e32 v1, v1, v3, vcc
	v_xor_b32_e32 v1, v1, v4
	v_sub_u32_e32 v1, v1, v4
	v_ashrrev_i32_e32 v4, 31, v1
	v_mul_lo_u32 v3, v1, s10
	v_mul_lo_u32 v5, s9, v1
	v_mad_u64_u32 v[1:2], s[4:5], s8, v1, 0
	v_mul_lo_u32 v6, s8, v4
	v_sub_u32_e32 v3, v0, v3
	v_ashrrev_i32_e32 v4, 31, v3
	v_add3_u32 v2, v2, v6, v5
	v_lshlrev_b64 v[0:1], 4, v[1:2]
	v_lshlrev_b64 v[2:3], 4, v[3:4]
	v_add_co_u32_e32 v0, vcc, s6, v0
	v_addc_co_u32_e32 v1, vcc, v7, v1, vcc
	v_add_co_u32_e32 v4, vcc, v0, v2
	v_addc_co_u32_e32 v5, vcc, v1, v3, vcc
	v_mov_b32_e32 v0, s0
	v_mov_b32_e32 v1, s1
	;; [unrolled: 1-line block ×4, first 2 shown]
	global_store_dwordx4 v[4:5], v[0:3], off
.LBB41_2:
	s_endpgm
	.section	.rodata,"a",@progbits
	.p2align	6, 0x0
	.amdhsa_kernel _ZN9rocsparseL16valset_2d_kernelILj256Ei21rocsparse_complex_numIdEEEvT0_S3_lT1_PS4_16rocsparse_order_
		.amdhsa_group_segment_fixed_size 0
		.amdhsa_private_segment_fixed_size 0
		.amdhsa_kernarg_size 44
		.amdhsa_user_sgpr_count 6
		.amdhsa_user_sgpr_private_segment_buffer 1
		.amdhsa_user_sgpr_dispatch_ptr 0
		.amdhsa_user_sgpr_queue_ptr 0
		.amdhsa_user_sgpr_kernarg_segment_ptr 1
		.amdhsa_user_sgpr_dispatch_id 0
		.amdhsa_user_sgpr_flat_scratch_init 0
		.amdhsa_user_sgpr_private_segment_size 0
		.amdhsa_uses_dynamic_stack 0
		.amdhsa_system_sgpr_private_segment_wavefront_offset 0
		.amdhsa_system_sgpr_workgroup_id_x 1
		.amdhsa_system_sgpr_workgroup_id_y 0
		.amdhsa_system_sgpr_workgroup_id_z 0
		.amdhsa_system_sgpr_workgroup_info 0
		.amdhsa_system_vgpr_workitem_id 0
		.amdhsa_next_free_vgpr 8
		.amdhsa_next_free_sgpr 12
		.amdhsa_reserve_vcc 1
		.amdhsa_reserve_flat_scratch 0
		.amdhsa_float_round_mode_32 0
		.amdhsa_float_round_mode_16_64 0
		.amdhsa_float_denorm_mode_32 3
		.amdhsa_float_denorm_mode_16_64 3
		.amdhsa_dx10_clamp 1
		.amdhsa_ieee_mode 1
		.amdhsa_fp16_overflow 0
		.amdhsa_exception_fp_ieee_invalid_op 0
		.amdhsa_exception_fp_denorm_src 0
		.amdhsa_exception_fp_ieee_div_zero 0
		.amdhsa_exception_fp_ieee_overflow 0
		.amdhsa_exception_fp_ieee_underflow 0
		.amdhsa_exception_fp_ieee_inexact 0
		.amdhsa_exception_int_div_zero 0
	.end_amdhsa_kernel
	.section	.text._ZN9rocsparseL16valset_2d_kernelILj256Ei21rocsparse_complex_numIdEEEvT0_S3_lT1_PS4_16rocsparse_order_,"axG",@progbits,_ZN9rocsparseL16valset_2d_kernelILj256Ei21rocsparse_complex_numIdEEEvT0_S3_lT1_PS4_16rocsparse_order_,comdat
.Lfunc_end41:
	.size	_ZN9rocsparseL16valset_2d_kernelILj256Ei21rocsparse_complex_numIdEEEvT0_S3_lT1_PS4_16rocsparse_order_, .Lfunc_end41-_ZN9rocsparseL16valset_2d_kernelILj256Ei21rocsparse_complex_numIdEEEvT0_S3_lT1_PS4_16rocsparse_order_
                                        ; -- End function
	.set _ZN9rocsparseL16valset_2d_kernelILj256Ei21rocsparse_complex_numIdEEEvT0_S3_lT1_PS4_16rocsparse_order_.num_vgpr, 8
	.set _ZN9rocsparseL16valset_2d_kernelILj256Ei21rocsparse_complex_numIdEEEvT0_S3_lT1_PS4_16rocsparse_order_.num_agpr, 0
	.set _ZN9rocsparseL16valset_2d_kernelILj256Ei21rocsparse_complex_numIdEEEvT0_S3_lT1_PS4_16rocsparse_order_.numbered_sgpr, 12
	.set _ZN9rocsparseL16valset_2d_kernelILj256Ei21rocsparse_complex_numIdEEEvT0_S3_lT1_PS4_16rocsparse_order_.num_named_barrier, 0
	.set _ZN9rocsparseL16valset_2d_kernelILj256Ei21rocsparse_complex_numIdEEEvT0_S3_lT1_PS4_16rocsparse_order_.private_seg_size, 0
	.set _ZN9rocsparseL16valset_2d_kernelILj256Ei21rocsparse_complex_numIdEEEvT0_S3_lT1_PS4_16rocsparse_order_.uses_vcc, 1
	.set _ZN9rocsparseL16valset_2d_kernelILj256Ei21rocsparse_complex_numIdEEEvT0_S3_lT1_PS4_16rocsparse_order_.uses_flat_scratch, 0
	.set _ZN9rocsparseL16valset_2d_kernelILj256Ei21rocsparse_complex_numIdEEEvT0_S3_lT1_PS4_16rocsparse_order_.has_dyn_sized_stack, 0
	.set _ZN9rocsparseL16valset_2d_kernelILj256Ei21rocsparse_complex_numIdEEEvT0_S3_lT1_PS4_16rocsparse_order_.has_recursion, 0
	.set _ZN9rocsparseL16valset_2d_kernelILj256Ei21rocsparse_complex_numIdEEEvT0_S3_lT1_PS4_16rocsparse_order_.has_indirect_call, 0
	.section	.AMDGPU.csdata,"",@progbits
; Kernel info:
; codeLenInByte = 324
; TotalNumSgprs: 16
; NumVgprs: 8
; ScratchSize: 0
; MemoryBound: 0
; FloatMode: 240
; IeeeMode: 1
; LDSByteSize: 0 bytes/workgroup (compile time only)
; SGPRBlocks: 1
; VGPRBlocks: 1
; NumSGPRsForWavesPerEU: 16
; NumVGPRsForWavesPerEU: 8
; Occupancy: 10
; WaveLimiterHint : 0
; COMPUTE_PGM_RSRC2:SCRATCH_EN: 0
; COMPUTE_PGM_RSRC2:USER_SGPR: 6
; COMPUTE_PGM_RSRC2:TRAP_HANDLER: 0
; COMPUTE_PGM_RSRC2:TGID_X_EN: 1
; COMPUTE_PGM_RSRC2:TGID_Y_EN: 0
; COMPUTE_PGM_RSRC2:TGID_Z_EN: 0
; COMPUTE_PGM_RSRC2:TIDIG_COMP_CNT: 0
	.section	.text._ZN9rocsparseL16valset_2d_kernelILj256ElDF16_EEvT0_S1_lT1_PS2_16rocsparse_order_,"axG",@progbits,_ZN9rocsparseL16valset_2d_kernelILj256ElDF16_EEvT0_S1_lT1_PS2_16rocsparse_order_,comdat
	.globl	_ZN9rocsparseL16valset_2d_kernelILj256ElDF16_EEvT0_S1_lT1_PS2_16rocsparse_order_ ; -- Begin function _ZN9rocsparseL16valset_2d_kernelILj256ElDF16_EEvT0_S1_lT1_PS2_16rocsparse_order_
	.p2align	8
	.type	_ZN9rocsparseL16valset_2d_kernelILj256ElDF16_EEvT0_S1_lT1_PS2_16rocsparse_order_,@function
_ZN9rocsparseL16valset_2d_kernelILj256ElDF16_EEvT0_S1_lT1_PS2_16rocsparse_order_: ; @_ZN9rocsparseL16valset_2d_kernelILj256ElDF16_EEvT0_S1_lT1_PS2_16rocsparse_order_
; %bb.0:
	s_load_dwordx4 s[0:3], s[4:5], 0x0
	v_lshl_or_b32 v0, s6, 8, v0
	v_mov_b32_e32 v1, 0
	s_waitcnt lgkmcnt(0)
	s_mul_i32 s6, s2, s1
	s_mul_hi_u32 s7, s2, s0
	s_add_i32 s6, s7, s6
	s_mul_i32 s7, s3, s0
	s_add_i32 s7, s6, s7
	s_mul_i32 s6, s2, s0
	v_cmp_gt_i64_e32 vcc, s[6:7], v[0:1]
	s_and_saveexec_b64 s[6:7], vcc
	s_cbranch_execz .LBB42_5
; %bb.1:
	s_load_dword s8, s[4:5], 0x28
	s_load_dwordx2 s[6:7], s[4:5], 0x10
	s_waitcnt lgkmcnt(0)
	s_cmp_eq_u32 s8, 1
	s_cselect_b32 s3, s1, s3
	s_cselect_b32 s14, s0, s2
	s_mov_b32 s2, 0
	s_cmp_lg_u64 s[2:3], 0
	s_cbranch_scc0 .LBB42_6
; %bb.2:
	s_ashr_i32 s8, s3, 31
	s_add_u32 s0, s14, s8
	s_mov_b32 s9, s8
	s_addc_u32 s1, s3, s8
	s_xor_b64 s[10:11], s[0:1], s[8:9]
	v_cvt_f32_u32_e32 v1, s10
	v_cvt_f32_u32_e32 v2, s11
	s_sub_u32 s2, 0, s10
	s_subb_u32 s9, 0, s11
	v_add_co_u32_e32 v5, vcc, 0, v0
	v_madmk_f32 v1, v2, 0x4f800000, v1
	v_rcp_f32_e32 v1, v1
	v_mul_f32_e32 v1, 0x5f7ffffc, v1
	v_mul_f32_e32 v2, 0x2f800000, v1
	v_trunc_f32_e32 v2, v2
	v_madmk_f32 v1, v2, 0xcf800000, v1
	v_cvt_u32_f32_e32 v2, v2
	v_cvt_u32_f32_e32 v1, v1
	v_readfirstlane_b32 s12, v2
	v_readfirstlane_b32 s0, v1
	s_mul_i32 s1, s2, s12
	s_mul_hi_u32 s15, s2, s0
	s_mul_i32 s13, s9, s0
	s_add_i32 s1, s15, s1
	s_add_i32 s1, s1, s13
	s_mul_i32 s16, s2, s0
	s_mul_i32 s15, s0, s1
	s_mul_hi_u32 s17, s0, s16
	s_mul_hi_u32 s13, s0, s1
	s_add_u32 s15, s17, s15
	s_addc_u32 s13, 0, s13
	s_mul_hi_u32 s18, s12, s16
	s_mul_i32 s16, s12, s16
	s_add_u32 s15, s15, s16
	s_mul_hi_u32 s17, s12, s1
	s_addc_u32 s13, s13, s18
	s_addc_u32 s15, s17, 0
	s_mul_i32 s1, s12, s1
	s_add_u32 s1, s13, s1
	s_addc_u32 s13, 0, s15
	s_add_u32 s15, s0, s1
	s_cselect_b64 s[0:1], -1, 0
	s_cmp_lg_u64 s[0:1], 0
	s_addc_u32 s12, s12, s13
	s_mul_i32 s0, s2, s12
	s_mul_hi_u32 s1, s2, s15
	s_add_i32 s0, s1, s0
	s_mul_i32 s9, s9, s15
	s_add_i32 s0, s0, s9
	s_mul_i32 s2, s2, s15
	s_mul_hi_u32 s9, s12, s2
	s_mul_i32 s13, s12, s2
	s_mul_i32 s17, s15, s0
	s_mul_hi_u32 s2, s15, s2
	s_mul_hi_u32 s16, s15, s0
	s_add_u32 s2, s2, s17
	s_addc_u32 s16, 0, s16
	s_add_u32 s2, s2, s13
	s_mul_hi_u32 s1, s12, s0
	s_addc_u32 s2, s16, s9
	s_addc_u32 s1, s1, 0
	s_mul_i32 s0, s12, s0
	s_add_u32 s0, s2, s0
	s_addc_u32 s2, 0, s1
	s_add_u32 s9, s15, s0
	s_cselect_b64 s[0:1], -1, 0
	s_cmp_lg_u64 s[0:1], 0
	s_addc_u32 s2, s12, s2
	v_mad_u64_u32 v[1:2], s[0:1], v5, s2, 0
	v_mul_hi_u32 v3, v5, s9
	v_addc_co_u32_e64 v6, s[0:1], 0, 0, vcc
	v_add_co_u32_e32 v7, vcc, v3, v1
	v_addc_co_u32_e32 v8, vcc, 0, v2, vcc
	v_mad_u64_u32 v[1:2], s[0:1], v6, s9, 0
	v_mad_u64_u32 v[3:4], s[0:1], v6, s2, 0
	v_add_co_u32_e32 v1, vcc, v7, v1
	v_addc_co_u32_e32 v1, vcc, v8, v2, vcc
	v_addc_co_u32_e32 v2, vcc, 0, v4, vcc
	v_add_co_u32_e32 v3, vcc, v1, v3
	v_addc_co_u32_e32 v4, vcc, 0, v2, vcc
	v_mul_lo_u32 v7, s11, v3
	v_mul_lo_u32 v8, s10, v4
	v_mad_u64_u32 v[1:2], s[0:1], s10, v3, 0
	v_add3_u32 v2, v2, v8, v7
	v_sub_u32_e32 v7, v6, v2
	v_mov_b32_e32 v8, s11
	v_sub_co_u32_e32 v1, vcc, v5, v1
	v_subb_co_u32_e64 v5, s[0:1], v7, v8, vcc
	v_subrev_co_u32_e64 v7, s[0:1], s10, v1
	v_subbrev_co_u32_e64 v5, s[0:1], 0, v5, s[0:1]
	v_cmp_le_u32_e64 s[0:1], s11, v5
	v_cndmask_b32_e64 v8, 0, -1, s[0:1]
	v_cmp_le_u32_e64 s[0:1], s10, v7
	v_cndmask_b32_e64 v7, 0, -1, s[0:1]
	v_cmp_eq_u32_e64 s[0:1], s11, v5
	v_cndmask_b32_e64 v5, v8, v7, s[0:1]
	v_add_co_u32_e64 v7, s[0:1], 2, v3
	v_subb_co_u32_e32 v2, vcc, v6, v2, vcc
	v_addc_co_u32_e64 v8, s[0:1], 0, v4, s[0:1]
	v_cmp_le_u32_e32 vcc, s11, v2
	v_add_co_u32_e64 v9, s[0:1], 1, v3
	v_cndmask_b32_e64 v6, 0, -1, vcc
	v_cmp_le_u32_e32 vcc, s10, v1
	v_addc_co_u32_e64 v10, s[0:1], 0, v4, s[0:1]
	v_cndmask_b32_e64 v1, 0, -1, vcc
	v_cmp_eq_u32_e32 vcc, s11, v2
	v_cmp_ne_u32_e64 s[0:1], 0, v5
	v_cndmask_b32_e32 v1, v6, v1, vcc
	v_cndmask_b32_e64 v5, v10, v8, s[0:1]
	v_cmp_ne_u32_e32 vcc, 0, v1
	v_cndmask_b32_e64 v2, v9, v7, s[0:1]
	v_cndmask_b32_e32 v1, v4, v5, vcc
	v_cndmask_b32_e32 v2, v3, v2, vcc
	v_xor_b32_e32 v3, s8, v1
	v_xor_b32_e32 v1, s8, v2
	v_mov_b32_e32 v2, s8
	v_subrev_co_u32_e32 v1, vcc, s8, v1
	v_subb_co_u32_e32 v2, vcc, v3, v2, vcc
	s_cbranch_execnz .LBB42_4
.LBB42_3:
	v_cvt_f32_u32_e32 v1, s14
	s_sub_i32 s0, 0, s14
	v_rcp_iflag_f32_e32 v1, v1
	v_mul_f32_e32 v1, 0x4f7ffffe, v1
	v_cvt_u32_f32_e32 v1, v1
	v_mul_lo_u32 v2, s0, v1
	v_mul_hi_u32 v2, v1, v2
	v_add_u32_e32 v1, v1, v2
	v_mul_hi_u32 v1, v0, v1
	v_mul_lo_u32 v2, v1, s14
	v_add_u32_e32 v3, 1, v1
	v_sub_u32_e32 v2, v0, v2
	v_subrev_u32_e32 v4, s14, v2
	v_cmp_le_u32_e32 vcc, s14, v2
	v_cndmask_b32_e32 v2, v2, v4, vcc
	v_cndmask_b32_e32 v1, v1, v3, vcc
	v_add_u32_e32 v3, 1, v1
	v_cmp_le_u32_e32 vcc, s14, v2
	v_cndmask_b32_e32 v1, v1, v3, vcc
	v_mov_b32_e32 v2, 0
.LBB42_4:
	v_mul_lo_u32 v5, v2, s14
	v_mul_lo_u32 v6, v1, s3
	v_mad_u64_u32 v[3:4], s[0:1], v1, s14, 0
	s_load_dword s8, s[4:5], 0x18
	s_load_dwordx2 s[0:1], s[4:5], 0x20
	v_add3_u32 v4, v4, v6, v5
	v_mul_lo_u32 v5, v2, s6
	v_mul_lo_u32 v6, v1, s7
	v_mad_u64_u32 v[1:2], s[2:3], v1, s6, 0
	v_sub_co_u32_e32 v3, vcc, v0, v3
	v_subb_co_u32_e32 v4, vcc, 0, v4, vcc
	v_lshlrev_b64 v[3:4], 1, v[3:4]
	v_add3_u32 v2, v2, v6, v5
	s_waitcnt lgkmcnt(0)
	v_mov_b32_e32 v0, s1
	v_add_co_u32_e32 v3, vcc, s0, v3
	v_addc_co_u32_e32 v4, vcc, v0, v4, vcc
	v_lshlrev_b64 v[0:1], 1, v[1:2]
	v_mov_b32_e32 v2, s8
	v_add_co_u32_e32 v0, vcc, v3, v0
	v_addc_co_u32_e32 v1, vcc, v4, v1, vcc
	global_store_short v[0:1], v2, off
.LBB42_5:
	s_endpgm
.LBB42_6:
                                        ; implicit-def: $vgpr1_vgpr2
	s_branch .LBB42_3
	.section	.rodata,"a",@progbits
	.p2align	6, 0x0
	.amdhsa_kernel _ZN9rocsparseL16valset_2d_kernelILj256ElDF16_EEvT0_S1_lT1_PS2_16rocsparse_order_
		.amdhsa_group_segment_fixed_size 0
		.amdhsa_private_segment_fixed_size 0
		.amdhsa_kernarg_size 44
		.amdhsa_user_sgpr_count 6
		.amdhsa_user_sgpr_private_segment_buffer 1
		.amdhsa_user_sgpr_dispatch_ptr 0
		.amdhsa_user_sgpr_queue_ptr 0
		.amdhsa_user_sgpr_kernarg_segment_ptr 1
		.amdhsa_user_sgpr_dispatch_id 0
		.amdhsa_user_sgpr_flat_scratch_init 0
		.amdhsa_user_sgpr_private_segment_size 0
		.amdhsa_uses_dynamic_stack 0
		.amdhsa_system_sgpr_private_segment_wavefront_offset 0
		.amdhsa_system_sgpr_workgroup_id_x 1
		.amdhsa_system_sgpr_workgroup_id_y 0
		.amdhsa_system_sgpr_workgroup_id_z 0
		.amdhsa_system_sgpr_workgroup_info 0
		.amdhsa_system_vgpr_workitem_id 0
		.amdhsa_next_free_vgpr 11
		.amdhsa_next_free_sgpr 19
		.amdhsa_reserve_vcc 1
		.amdhsa_reserve_flat_scratch 0
		.amdhsa_float_round_mode_32 0
		.amdhsa_float_round_mode_16_64 0
		.amdhsa_float_denorm_mode_32 3
		.amdhsa_float_denorm_mode_16_64 3
		.amdhsa_dx10_clamp 1
		.amdhsa_ieee_mode 1
		.amdhsa_fp16_overflow 0
		.amdhsa_exception_fp_ieee_invalid_op 0
		.amdhsa_exception_fp_denorm_src 0
		.amdhsa_exception_fp_ieee_div_zero 0
		.amdhsa_exception_fp_ieee_overflow 0
		.amdhsa_exception_fp_ieee_underflow 0
		.amdhsa_exception_fp_ieee_inexact 0
		.amdhsa_exception_int_div_zero 0
	.end_amdhsa_kernel
	.section	.text._ZN9rocsparseL16valset_2d_kernelILj256ElDF16_EEvT0_S1_lT1_PS2_16rocsparse_order_,"axG",@progbits,_ZN9rocsparseL16valset_2d_kernelILj256ElDF16_EEvT0_S1_lT1_PS2_16rocsparse_order_,comdat
.Lfunc_end42:
	.size	_ZN9rocsparseL16valset_2d_kernelILj256ElDF16_EEvT0_S1_lT1_PS2_16rocsparse_order_, .Lfunc_end42-_ZN9rocsparseL16valset_2d_kernelILj256ElDF16_EEvT0_S1_lT1_PS2_16rocsparse_order_
                                        ; -- End function
	.set _ZN9rocsparseL16valset_2d_kernelILj256ElDF16_EEvT0_S1_lT1_PS2_16rocsparse_order_.num_vgpr, 11
	.set _ZN9rocsparseL16valset_2d_kernelILj256ElDF16_EEvT0_S1_lT1_PS2_16rocsparse_order_.num_agpr, 0
	.set _ZN9rocsparseL16valset_2d_kernelILj256ElDF16_EEvT0_S1_lT1_PS2_16rocsparse_order_.numbered_sgpr, 19
	.set _ZN9rocsparseL16valset_2d_kernelILj256ElDF16_EEvT0_S1_lT1_PS2_16rocsparse_order_.num_named_barrier, 0
	.set _ZN9rocsparseL16valset_2d_kernelILj256ElDF16_EEvT0_S1_lT1_PS2_16rocsparse_order_.private_seg_size, 0
	.set _ZN9rocsparseL16valset_2d_kernelILj256ElDF16_EEvT0_S1_lT1_PS2_16rocsparse_order_.uses_vcc, 1
	.set _ZN9rocsparseL16valset_2d_kernelILj256ElDF16_EEvT0_S1_lT1_PS2_16rocsparse_order_.uses_flat_scratch, 0
	.set _ZN9rocsparseL16valset_2d_kernelILj256ElDF16_EEvT0_S1_lT1_PS2_16rocsparse_order_.has_dyn_sized_stack, 0
	.set _ZN9rocsparseL16valset_2d_kernelILj256ElDF16_EEvT0_S1_lT1_PS2_16rocsparse_order_.has_recursion, 0
	.set _ZN9rocsparseL16valset_2d_kernelILj256ElDF16_EEvT0_S1_lT1_PS2_16rocsparse_order_.has_indirect_call, 0
	.section	.AMDGPU.csdata,"",@progbits
; Kernel info:
; codeLenInByte = 960
; TotalNumSgprs: 23
; NumVgprs: 11
; ScratchSize: 0
; MemoryBound: 0
; FloatMode: 240
; IeeeMode: 1
; LDSByteSize: 0 bytes/workgroup (compile time only)
; SGPRBlocks: 2
; VGPRBlocks: 2
; NumSGPRsForWavesPerEU: 23
; NumVGPRsForWavesPerEU: 11
; Occupancy: 10
; WaveLimiterHint : 0
; COMPUTE_PGM_RSRC2:SCRATCH_EN: 0
; COMPUTE_PGM_RSRC2:USER_SGPR: 6
; COMPUTE_PGM_RSRC2:TRAP_HANDLER: 0
; COMPUTE_PGM_RSRC2:TGID_X_EN: 1
; COMPUTE_PGM_RSRC2:TGID_Y_EN: 0
; COMPUTE_PGM_RSRC2:TGID_Z_EN: 0
; COMPUTE_PGM_RSRC2:TIDIG_COMP_CNT: 0
	.section	.text._ZN9rocsparseL16valset_2d_kernelILj256El18rocsparse_bfloat16EEvT0_S2_lT1_PS3_16rocsparse_order_,"axG",@progbits,_ZN9rocsparseL16valset_2d_kernelILj256El18rocsparse_bfloat16EEvT0_S2_lT1_PS3_16rocsparse_order_,comdat
	.globl	_ZN9rocsparseL16valset_2d_kernelILj256El18rocsparse_bfloat16EEvT0_S2_lT1_PS3_16rocsparse_order_ ; -- Begin function _ZN9rocsparseL16valset_2d_kernelILj256El18rocsparse_bfloat16EEvT0_S2_lT1_PS3_16rocsparse_order_
	.p2align	8
	.type	_ZN9rocsparseL16valset_2d_kernelILj256El18rocsparse_bfloat16EEvT0_S2_lT1_PS3_16rocsparse_order_,@function
_ZN9rocsparseL16valset_2d_kernelILj256El18rocsparse_bfloat16EEvT0_S2_lT1_PS3_16rocsparse_order_: ; @_ZN9rocsparseL16valset_2d_kernelILj256El18rocsparse_bfloat16EEvT0_S2_lT1_PS3_16rocsparse_order_
; %bb.0:
	s_load_dwordx4 s[0:3], s[4:5], 0x0
	v_lshl_or_b32 v0, s6, 8, v0
	v_mov_b32_e32 v1, 0
	s_waitcnt lgkmcnt(0)
	s_mul_i32 s6, s2, s1
	s_mul_hi_u32 s7, s2, s0
	s_add_i32 s6, s7, s6
	s_mul_i32 s7, s3, s0
	s_add_i32 s7, s6, s7
	s_mul_i32 s6, s2, s0
	v_cmp_gt_i64_e32 vcc, s[6:7], v[0:1]
	s_and_saveexec_b64 s[6:7], vcc
	s_cbranch_execz .LBB43_5
; %bb.1:
	s_load_dword s8, s[4:5], 0x28
	s_load_dwordx2 s[6:7], s[4:5], 0x10
	s_waitcnt lgkmcnt(0)
	s_cmp_eq_u32 s8, 1
	s_cselect_b32 s3, s1, s3
	s_cselect_b32 s14, s0, s2
	s_mov_b32 s2, 0
	s_cmp_lg_u64 s[2:3], 0
	s_cbranch_scc0 .LBB43_6
; %bb.2:
	s_ashr_i32 s8, s3, 31
	s_add_u32 s0, s14, s8
	s_mov_b32 s9, s8
	s_addc_u32 s1, s3, s8
	s_xor_b64 s[10:11], s[0:1], s[8:9]
	v_cvt_f32_u32_e32 v1, s10
	v_cvt_f32_u32_e32 v2, s11
	s_sub_u32 s2, 0, s10
	s_subb_u32 s9, 0, s11
	v_add_co_u32_e32 v5, vcc, 0, v0
	v_madmk_f32 v1, v2, 0x4f800000, v1
	v_rcp_f32_e32 v1, v1
	v_mul_f32_e32 v1, 0x5f7ffffc, v1
	v_mul_f32_e32 v2, 0x2f800000, v1
	v_trunc_f32_e32 v2, v2
	v_madmk_f32 v1, v2, 0xcf800000, v1
	v_cvt_u32_f32_e32 v2, v2
	v_cvt_u32_f32_e32 v1, v1
	v_readfirstlane_b32 s12, v2
	v_readfirstlane_b32 s0, v1
	s_mul_i32 s1, s2, s12
	s_mul_hi_u32 s15, s2, s0
	s_mul_i32 s13, s9, s0
	s_add_i32 s1, s15, s1
	s_add_i32 s1, s1, s13
	s_mul_i32 s16, s2, s0
	s_mul_i32 s15, s0, s1
	s_mul_hi_u32 s17, s0, s16
	s_mul_hi_u32 s13, s0, s1
	s_add_u32 s15, s17, s15
	s_addc_u32 s13, 0, s13
	s_mul_hi_u32 s18, s12, s16
	s_mul_i32 s16, s12, s16
	s_add_u32 s15, s15, s16
	s_mul_hi_u32 s17, s12, s1
	s_addc_u32 s13, s13, s18
	s_addc_u32 s15, s17, 0
	s_mul_i32 s1, s12, s1
	s_add_u32 s1, s13, s1
	s_addc_u32 s13, 0, s15
	s_add_u32 s15, s0, s1
	s_cselect_b64 s[0:1], -1, 0
	s_cmp_lg_u64 s[0:1], 0
	s_addc_u32 s12, s12, s13
	s_mul_i32 s0, s2, s12
	s_mul_hi_u32 s1, s2, s15
	s_add_i32 s0, s1, s0
	s_mul_i32 s9, s9, s15
	s_add_i32 s0, s0, s9
	s_mul_i32 s2, s2, s15
	s_mul_hi_u32 s9, s12, s2
	s_mul_i32 s13, s12, s2
	s_mul_i32 s17, s15, s0
	s_mul_hi_u32 s2, s15, s2
	s_mul_hi_u32 s16, s15, s0
	s_add_u32 s2, s2, s17
	s_addc_u32 s16, 0, s16
	s_add_u32 s2, s2, s13
	s_mul_hi_u32 s1, s12, s0
	s_addc_u32 s2, s16, s9
	s_addc_u32 s1, s1, 0
	s_mul_i32 s0, s12, s0
	s_add_u32 s0, s2, s0
	s_addc_u32 s2, 0, s1
	s_add_u32 s9, s15, s0
	s_cselect_b64 s[0:1], -1, 0
	s_cmp_lg_u64 s[0:1], 0
	s_addc_u32 s2, s12, s2
	v_mad_u64_u32 v[1:2], s[0:1], v5, s2, 0
	v_mul_hi_u32 v3, v5, s9
	v_addc_co_u32_e64 v6, s[0:1], 0, 0, vcc
	v_add_co_u32_e32 v7, vcc, v3, v1
	v_addc_co_u32_e32 v8, vcc, 0, v2, vcc
	v_mad_u64_u32 v[1:2], s[0:1], v6, s9, 0
	v_mad_u64_u32 v[3:4], s[0:1], v6, s2, 0
	v_add_co_u32_e32 v1, vcc, v7, v1
	v_addc_co_u32_e32 v1, vcc, v8, v2, vcc
	v_addc_co_u32_e32 v2, vcc, 0, v4, vcc
	v_add_co_u32_e32 v3, vcc, v1, v3
	v_addc_co_u32_e32 v4, vcc, 0, v2, vcc
	v_mul_lo_u32 v7, s11, v3
	v_mul_lo_u32 v8, s10, v4
	v_mad_u64_u32 v[1:2], s[0:1], s10, v3, 0
	v_add3_u32 v2, v2, v8, v7
	v_sub_u32_e32 v7, v6, v2
	v_mov_b32_e32 v8, s11
	v_sub_co_u32_e32 v1, vcc, v5, v1
	v_subb_co_u32_e64 v5, s[0:1], v7, v8, vcc
	v_subrev_co_u32_e64 v7, s[0:1], s10, v1
	v_subbrev_co_u32_e64 v5, s[0:1], 0, v5, s[0:1]
	v_cmp_le_u32_e64 s[0:1], s11, v5
	v_cndmask_b32_e64 v8, 0, -1, s[0:1]
	v_cmp_le_u32_e64 s[0:1], s10, v7
	v_cndmask_b32_e64 v7, 0, -1, s[0:1]
	v_cmp_eq_u32_e64 s[0:1], s11, v5
	v_cndmask_b32_e64 v5, v8, v7, s[0:1]
	v_add_co_u32_e64 v7, s[0:1], 2, v3
	v_subb_co_u32_e32 v2, vcc, v6, v2, vcc
	v_addc_co_u32_e64 v8, s[0:1], 0, v4, s[0:1]
	v_cmp_le_u32_e32 vcc, s11, v2
	v_add_co_u32_e64 v9, s[0:1], 1, v3
	v_cndmask_b32_e64 v6, 0, -1, vcc
	v_cmp_le_u32_e32 vcc, s10, v1
	v_addc_co_u32_e64 v10, s[0:1], 0, v4, s[0:1]
	v_cndmask_b32_e64 v1, 0, -1, vcc
	v_cmp_eq_u32_e32 vcc, s11, v2
	v_cmp_ne_u32_e64 s[0:1], 0, v5
	v_cndmask_b32_e32 v1, v6, v1, vcc
	v_cndmask_b32_e64 v5, v10, v8, s[0:1]
	v_cmp_ne_u32_e32 vcc, 0, v1
	v_cndmask_b32_e64 v2, v9, v7, s[0:1]
	v_cndmask_b32_e32 v1, v4, v5, vcc
	v_cndmask_b32_e32 v2, v3, v2, vcc
	v_xor_b32_e32 v3, s8, v1
	v_xor_b32_e32 v1, s8, v2
	v_mov_b32_e32 v2, s8
	v_subrev_co_u32_e32 v1, vcc, s8, v1
	v_subb_co_u32_e32 v2, vcc, v3, v2, vcc
	s_cbranch_execnz .LBB43_4
.LBB43_3:
	v_cvt_f32_u32_e32 v1, s14
	s_sub_i32 s0, 0, s14
	v_rcp_iflag_f32_e32 v1, v1
	v_mul_f32_e32 v1, 0x4f7ffffe, v1
	v_cvt_u32_f32_e32 v1, v1
	v_mul_lo_u32 v2, s0, v1
	v_mul_hi_u32 v2, v1, v2
	v_add_u32_e32 v1, v1, v2
	v_mul_hi_u32 v1, v0, v1
	v_mul_lo_u32 v2, v1, s14
	v_add_u32_e32 v3, 1, v1
	v_sub_u32_e32 v2, v0, v2
	v_subrev_u32_e32 v4, s14, v2
	v_cmp_le_u32_e32 vcc, s14, v2
	v_cndmask_b32_e32 v2, v2, v4, vcc
	v_cndmask_b32_e32 v1, v1, v3, vcc
	v_add_u32_e32 v3, 1, v1
	v_cmp_le_u32_e32 vcc, s14, v2
	v_cndmask_b32_e32 v1, v1, v3, vcc
	v_mov_b32_e32 v2, 0
.LBB43_4:
	v_mul_lo_u32 v5, v2, s14
	v_mul_lo_u32 v6, v1, s3
	v_mad_u64_u32 v[3:4], s[0:1], v1, s14, 0
	s_load_dword s8, s[4:5], 0x18
	s_load_dwordx2 s[0:1], s[4:5], 0x20
	v_add3_u32 v4, v4, v6, v5
	v_mul_lo_u32 v5, v2, s6
	v_mul_lo_u32 v6, v1, s7
	v_mad_u64_u32 v[1:2], s[2:3], v1, s6, 0
	v_sub_co_u32_e32 v3, vcc, v0, v3
	v_subb_co_u32_e32 v4, vcc, 0, v4, vcc
	v_lshlrev_b64 v[3:4], 1, v[3:4]
	v_add3_u32 v2, v2, v6, v5
	s_waitcnt lgkmcnt(0)
	v_mov_b32_e32 v0, s1
	v_add_co_u32_e32 v3, vcc, s0, v3
	v_addc_co_u32_e32 v4, vcc, v0, v4, vcc
	v_lshlrev_b64 v[0:1], 1, v[1:2]
	v_mov_b32_e32 v2, s8
	v_add_co_u32_e32 v0, vcc, v3, v0
	v_addc_co_u32_e32 v1, vcc, v4, v1, vcc
	global_store_short v[0:1], v2, off
.LBB43_5:
	s_endpgm
.LBB43_6:
                                        ; implicit-def: $vgpr1_vgpr2
	s_branch .LBB43_3
	.section	.rodata,"a",@progbits
	.p2align	6, 0x0
	.amdhsa_kernel _ZN9rocsparseL16valset_2d_kernelILj256El18rocsparse_bfloat16EEvT0_S2_lT1_PS3_16rocsparse_order_
		.amdhsa_group_segment_fixed_size 0
		.amdhsa_private_segment_fixed_size 0
		.amdhsa_kernarg_size 44
		.amdhsa_user_sgpr_count 6
		.amdhsa_user_sgpr_private_segment_buffer 1
		.amdhsa_user_sgpr_dispatch_ptr 0
		.amdhsa_user_sgpr_queue_ptr 0
		.amdhsa_user_sgpr_kernarg_segment_ptr 1
		.amdhsa_user_sgpr_dispatch_id 0
		.amdhsa_user_sgpr_flat_scratch_init 0
		.amdhsa_user_sgpr_private_segment_size 0
		.amdhsa_uses_dynamic_stack 0
		.amdhsa_system_sgpr_private_segment_wavefront_offset 0
		.amdhsa_system_sgpr_workgroup_id_x 1
		.amdhsa_system_sgpr_workgroup_id_y 0
		.amdhsa_system_sgpr_workgroup_id_z 0
		.amdhsa_system_sgpr_workgroup_info 0
		.amdhsa_system_vgpr_workitem_id 0
		.amdhsa_next_free_vgpr 11
		.amdhsa_next_free_sgpr 19
		.amdhsa_reserve_vcc 1
		.amdhsa_reserve_flat_scratch 0
		.amdhsa_float_round_mode_32 0
		.amdhsa_float_round_mode_16_64 0
		.amdhsa_float_denorm_mode_32 3
		.amdhsa_float_denorm_mode_16_64 3
		.amdhsa_dx10_clamp 1
		.amdhsa_ieee_mode 1
		.amdhsa_fp16_overflow 0
		.amdhsa_exception_fp_ieee_invalid_op 0
		.amdhsa_exception_fp_denorm_src 0
		.amdhsa_exception_fp_ieee_div_zero 0
		.amdhsa_exception_fp_ieee_overflow 0
		.amdhsa_exception_fp_ieee_underflow 0
		.amdhsa_exception_fp_ieee_inexact 0
		.amdhsa_exception_int_div_zero 0
	.end_amdhsa_kernel
	.section	.text._ZN9rocsparseL16valset_2d_kernelILj256El18rocsparse_bfloat16EEvT0_S2_lT1_PS3_16rocsparse_order_,"axG",@progbits,_ZN9rocsparseL16valset_2d_kernelILj256El18rocsparse_bfloat16EEvT0_S2_lT1_PS3_16rocsparse_order_,comdat
.Lfunc_end43:
	.size	_ZN9rocsparseL16valset_2d_kernelILj256El18rocsparse_bfloat16EEvT0_S2_lT1_PS3_16rocsparse_order_, .Lfunc_end43-_ZN9rocsparseL16valset_2d_kernelILj256El18rocsparse_bfloat16EEvT0_S2_lT1_PS3_16rocsparse_order_
                                        ; -- End function
	.set _ZN9rocsparseL16valset_2d_kernelILj256El18rocsparse_bfloat16EEvT0_S2_lT1_PS3_16rocsparse_order_.num_vgpr, 11
	.set _ZN9rocsparseL16valset_2d_kernelILj256El18rocsparse_bfloat16EEvT0_S2_lT1_PS3_16rocsparse_order_.num_agpr, 0
	.set _ZN9rocsparseL16valset_2d_kernelILj256El18rocsparse_bfloat16EEvT0_S2_lT1_PS3_16rocsparse_order_.numbered_sgpr, 19
	.set _ZN9rocsparseL16valset_2d_kernelILj256El18rocsparse_bfloat16EEvT0_S2_lT1_PS3_16rocsparse_order_.num_named_barrier, 0
	.set _ZN9rocsparseL16valset_2d_kernelILj256El18rocsparse_bfloat16EEvT0_S2_lT1_PS3_16rocsparse_order_.private_seg_size, 0
	.set _ZN9rocsparseL16valset_2d_kernelILj256El18rocsparse_bfloat16EEvT0_S2_lT1_PS3_16rocsparse_order_.uses_vcc, 1
	.set _ZN9rocsparseL16valset_2d_kernelILj256El18rocsparse_bfloat16EEvT0_S2_lT1_PS3_16rocsparse_order_.uses_flat_scratch, 0
	.set _ZN9rocsparseL16valset_2d_kernelILj256El18rocsparse_bfloat16EEvT0_S2_lT1_PS3_16rocsparse_order_.has_dyn_sized_stack, 0
	.set _ZN9rocsparseL16valset_2d_kernelILj256El18rocsparse_bfloat16EEvT0_S2_lT1_PS3_16rocsparse_order_.has_recursion, 0
	.set _ZN9rocsparseL16valset_2d_kernelILj256El18rocsparse_bfloat16EEvT0_S2_lT1_PS3_16rocsparse_order_.has_indirect_call, 0
	.section	.AMDGPU.csdata,"",@progbits
; Kernel info:
; codeLenInByte = 960
; TotalNumSgprs: 23
; NumVgprs: 11
; ScratchSize: 0
; MemoryBound: 0
; FloatMode: 240
; IeeeMode: 1
; LDSByteSize: 0 bytes/workgroup (compile time only)
; SGPRBlocks: 2
; VGPRBlocks: 2
; NumSGPRsForWavesPerEU: 23
; NumVGPRsForWavesPerEU: 11
; Occupancy: 10
; WaveLimiterHint : 0
; COMPUTE_PGM_RSRC2:SCRATCH_EN: 0
; COMPUTE_PGM_RSRC2:USER_SGPR: 6
; COMPUTE_PGM_RSRC2:TRAP_HANDLER: 0
; COMPUTE_PGM_RSRC2:TGID_X_EN: 1
; COMPUTE_PGM_RSRC2:TGID_Y_EN: 0
; COMPUTE_PGM_RSRC2:TGID_Z_EN: 0
; COMPUTE_PGM_RSRC2:TIDIG_COMP_CNT: 0
	.section	.text._ZN9rocsparseL16valset_2d_kernelILj256ElfEEvT0_S1_lT1_PS2_16rocsparse_order_,"axG",@progbits,_ZN9rocsparseL16valset_2d_kernelILj256ElfEEvT0_S1_lT1_PS2_16rocsparse_order_,comdat
	.globl	_ZN9rocsparseL16valset_2d_kernelILj256ElfEEvT0_S1_lT1_PS2_16rocsparse_order_ ; -- Begin function _ZN9rocsparseL16valset_2d_kernelILj256ElfEEvT0_S1_lT1_PS2_16rocsparse_order_
	.p2align	8
	.type	_ZN9rocsparseL16valset_2d_kernelILj256ElfEEvT0_S1_lT1_PS2_16rocsparse_order_,@function
_ZN9rocsparseL16valset_2d_kernelILj256ElfEEvT0_S1_lT1_PS2_16rocsparse_order_: ; @_ZN9rocsparseL16valset_2d_kernelILj256ElfEEvT0_S1_lT1_PS2_16rocsparse_order_
; %bb.0:
	s_load_dwordx4 s[0:3], s[4:5], 0x0
	v_lshl_or_b32 v0, s6, 8, v0
	v_mov_b32_e32 v1, 0
	s_waitcnt lgkmcnt(0)
	s_mul_i32 s6, s2, s1
	s_mul_hi_u32 s7, s2, s0
	s_add_i32 s6, s7, s6
	s_mul_i32 s7, s3, s0
	s_add_i32 s7, s6, s7
	s_mul_i32 s6, s2, s0
	v_cmp_gt_i64_e32 vcc, s[6:7], v[0:1]
	s_and_saveexec_b64 s[6:7], vcc
	s_cbranch_execz .LBB44_5
; %bb.1:
	s_load_dword s8, s[4:5], 0x28
	s_load_dwordx2 s[6:7], s[4:5], 0x10
	s_waitcnt lgkmcnt(0)
	s_cmp_eq_u32 s8, 1
	s_cselect_b32 s3, s1, s3
	s_cselect_b32 s14, s0, s2
	s_mov_b32 s2, 0
	s_cmp_lg_u64 s[2:3], 0
	s_cbranch_scc0 .LBB44_6
; %bb.2:
	s_ashr_i32 s8, s3, 31
	s_add_u32 s0, s14, s8
	s_mov_b32 s9, s8
	s_addc_u32 s1, s3, s8
	s_xor_b64 s[10:11], s[0:1], s[8:9]
	v_cvt_f32_u32_e32 v1, s10
	v_cvt_f32_u32_e32 v2, s11
	s_sub_u32 s2, 0, s10
	s_subb_u32 s9, 0, s11
	v_add_co_u32_e32 v5, vcc, 0, v0
	v_madmk_f32 v1, v2, 0x4f800000, v1
	v_rcp_f32_e32 v1, v1
	v_mul_f32_e32 v1, 0x5f7ffffc, v1
	v_mul_f32_e32 v2, 0x2f800000, v1
	v_trunc_f32_e32 v2, v2
	v_madmk_f32 v1, v2, 0xcf800000, v1
	v_cvt_u32_f32_e32 v2, v2
	v_cvt_u32_f32_e32 v1, v1
	v_readfirstlane_b32 s12, v2
	v_readfirstlane_b32 s0, v1
	s_mul_i32 s1, s2, s12
	s_mul_hi_u32 s15, s2, s0
	s_mul_i32 s13, s9, s0
	s_add_i32 s1, s15, s1
	s_add_i32 s1, s1, s13
	s_mul_i32 s16, s2, s0
	s_mul_i32 s15, s0, s1
	s_mul_hi_u32 s17, s0, s16
	s_mul_hi_u32 s13, s0, s1
	s_add_u32 s15, s17, s15
	s_addc_u32 s13, 0, s13
	s_mul_hi_u32 s18, s12, s16
	s_mul_i32 s16, s12, s16
	s_add_u32 s15, s15, s16
	s_mul_hi_u32 s17, s12, s1
	s_addc_u32 s13, s13, s18
	s_addc_u32 s15, s17, 0
	s_mul_i32 s1, s12, s1
	s_add_u32 s1, s13, s1
	s_addc_u32 s13, 0, s15
	s_add_u32 s15, s0, s1
	s_cselect_b64 s[0:1], -1, 0
	s_cmp_lg_u64 s[0:1], 0
	s_addc_u32 s12, s12, s13
	s_mul_i32 s0, s2, s12
	s_mul_hi_u32 s1, s2, s15
	s_add_i32 s0, s1, s0
	s_mul_i32 s9, s9, s15
	s_add_i32 s0, s0, s9
	s_mul_i32 s2, s2, s15
	s_mul_hi_u32 s9, s12, s2
	s_mul_i32 s13, s12, s2
	s_mul_i32 s17, s15, s0
	s_mul_hi_u32 s2, s15, s2
	s_mul_hi_u32 s16, s15, s0
	s_add_u32 s2, s2, s17
	s_addc_u32 s16, 0, s16
	s_add_u32 s2, s2, s13
	s_mul_hi_u32 s1, s12, s0
	s_addc_u32 s2, s16, s9
	s_addc_u32 s1, s1, 0
	s_mul_i32 s0, s12, s0
	s_add_u32 s0, s2, s0
	s_addc_u32 s2, 0, s1
	s_add_u32 s9, s15, s0
	s_cselect_b64 s[0:1], -1, 0
	s_cmp_lg_u64 s[0:1], 0
	s_addc_u32 s2, s12, s2
	v_mad_u64_u32 v[1:2], s[0:1], v5, s2, 0
	v_mul_hi_u32 v3, v5, s9
	v_addc_co_u32_e64 v6, s[0:1], 0, 0, vcc
	v_add_co_u32_e32 v7, vcc, v3, v1
	v_addc_co_u32_e32 v8, vcc, 0, v2, vcc
	v_mad_u64_u32 v[1:2], s[0:1], v6, s9, 0
	v_mad_u64_u32 v[3:4], s[0:1], v6, s2, 0
	v_add_co_u32_e32 v1, vcc, v7, v1
	v_addc_co_u32_e32 v1, vcc, v8, v2, vcc
	v_addc_co_u32_e32 v2, vcc, 0, v4, vcc
	v_add_co_u32_e32 v3, vcc, v1, v3
	v_addc_co_u32_e32 v4, vcc, 0, v2, vcc
	v_mul_lo_u32 v7, s11, v3
	v_mul_lo_u32 v8, s10, v4
	v_mad_u64_u32 v[1:2], s[0:1], s10, v3, 0
	v_add3_u32 v2, v2, v8, v7
	v_sub_u32_e32 v7, v6, v2
	v_mov_b32_e32 v8, s11
	v_sub_co_u32_e32 v1, vcc, v5, v1
	v_subb_co_u32_e64 v5, s[0:1], v7, v8, vcc
	v_subrev_co_u32_e64 v7, s[0:1], s10, v1
	v_subbrev_co_u32_e64 v5, s[0:1], 0, v5, s[0:1]
	v_cmp_le_u32_e64 s[0:1], s11, v5
	v_cndmask_b32_e64 v8, 0, -1, s[0:1]
	v_cmp_le_u32_e64 s[0:1], s10, v7
	v_cndmask_b32_e64 v7, 0, -1, s[0:1]
	v_cmp_eq_u32_e64 s[0:1], s11, v5
	v_cndmask_b32_e64 v5, v8, v7, s[0:1]
	v_add_co_u32_e64 v7, s[0:1], 2, v3
	v_subb_co_u32_e32 v2, vcc, v6, v2, vcc
	v_addc_co_u32_e64 v8, s[0:1], 0, v4, s[0:1]
	v_cmp_le_u32_e32 vcc, s11, v2
	v_add_co_u32_e64 v9, s[0:1], 1, v3
	v_cndmask_b32_e64 v6, 0, -1, vcc
	v_cmp_le_u32_e32 vcc, s10, v1
	v_addc_co_u32_e64 v10, s[0:1], 0, v4, s[0:1]
	v_cndmask_b32_e64 v1, 0, -1, vcc
	v_cmp_eq_u32_e32 vcc, s11, v2
	v_cmp_ne_u32_e64 s[0:1], 0, v5
	v_cndmask_b32_e32 v1, v6, v1, vcc
	v_cndmask_b32_e64 v5, v10, v8, s[0:1]
	v_cmp_ne_u32_e32 vcc, 0, v1
	v_cndmask_b32_e64 v2, v9, v7, s[0:1]
	v_cndmask_b32_e32 v1, v4, v5, vcc
	v_cndmask_b32_e32 v2, v3, v2, vcc
	v_xor_b32_e32 v3, s8, v1
	v_xor_b32_e32 v1, s8, v2
	v_mov_b32_e32 v2, s8
	v_subrev_co_u32_e32 v1, vcc, s8, v1
	v_subb_co_u32_e32 v2, vcc, v3, v2, vcc
	s_cbranch_execnz .LBB44_4
.LBB44_3:
	v_cvt_f32_u32_e32 v1, s14
	s_sub_i32 s0, 0, s14
	v_rcp_iflag_f32_e32 v1, v1
	v_mul_f32_e32 v1, 0x4f7ffffe, v1
	v_cvt_u32_f32_e32 v1, v1
	v_mul_lo_u32 v2, s0, v1
	v_mul_hi_u32 v2, v1, v2
	v_add_u32_e32 v1, v1, v2
	v_mul_hi_u32 v1, v0, v1
	v_mul_lo_u32 v2, v1, s14
	v_add_u32_e32 v3, 1, v1
	v_sub_u32_e32 v2, v0, v2
	v_subrev_u32_e32 v4, s14, v2
	v_cmp_le_u32_e32 vcc, s14, v2
	v_cndmask_b32_e32 v2, v2, v4, vcc
	v_cndmask_b32_e32 v1, v1, v3, vcc
	v_add_u32_e32 v3, 1, v1
	v_cmp_le_u32_e32 vcc, s14, v2
	v_cndmask_b32_e32 v1, v1, v3, vcc
	v_mov_b32_e32 v2, 0
.LBB44_4:
	v_mul_lo_u32 v5, v2, s14
	v_mul_lo_u32 v6, v1, s3
	v_mad_u64_u32 v[3:4], s[0:1], v1, s14, 0
	s_load_dword s8, s[4:5], 0x18
	s_load_dwordx2 s[0:1], s[4:5], 0x20
	v_add3_u32 v4, v4, v6, v5
	v_mul_lo_u32 v5, v2, s6
	v_mul_lo_u32 v6, v1, s7
	v_mad_u64_u32 v[1:2], s[2:3], v1, s6, 0
	v_sub_co_u32_e32 v3, vcc, v0, v3
	v_subb_co_u32_e32 v4, vcc, 0, v4, vcc
	v_lshlrev_b64 v[3:4], 2, v[3:4]
	v_add3_u32 v2, v2, v6, v5
	s_waitcnt lgkmcnt(0)
	v_mov_b32_e32 v0, s1
	v_add_co_u32_e32 v3, vcc, s0, v3
	v_addc_co_u32_e32 v4, vcc, v0, v4, vcc
	v_lshlrev_b64 v[0:1], 2, v[1:2]
	v_mov_b32_e32 v2, s8
	v_add_co_u32_e32 v0, vcc, v3, v0
	v_addc_co_u32_e32 v1, vcc, v4, v1, vcc
	global_store_dword v[0:1], v2, off
.LBB44_5:
	s_endpgm
.LBB44_6:
                                        ; implicit-def: $vgpr1_vgpr2
	s_branch .LBB44_3
	.section	.rodata,"a",@progbits
	.p2align	6, 0x0
	.amdhsa_kernel _ZN9rocsparseL16valset_2d_kernelILj256ElfEEvT0_S1_lT1_PS2_16rocsparse_order_
		.amdhsa_group_segment_fixed_size 0
		.amdhsa_private_segment_fixed_size 0
		.amdhsa_kernarg_size 44
		.amdhsa_user_sgpr_count 6
		.amdhsa_user_sgpr_private_segment_buffer 1
		.amdhsa_user_sgpr_dispatch_ptr 0
		.amdhsa_user_sgpr_queue_ptr 0
		.amdhsa_user_sgpr_kernarg_segment_ptr 1
		.amdhsa_user_sgpr_dispatch_id 0
		.amdhsa_user_sgpr_flat_scratch_init 0
		.amdhsa_user_sgpr_private_segment_size 0
		.amdhsa_uses_dynamic_stack 0
		.amdhsa_system_sgpr_private_segment_wavefront_offset 0
		.amdhsa_system_sgpr_workgroup_id_x 1
		.amdhsa_system_sgpr_workgroup_id_y 0
		.amdhsa_system_sgpr_workgroup_id_z 0
		.amdhsa_system_sgpr_workgroup_info 0
		.amdhsa_system_vgpr_workitem_id 0
		.amdhsa_next_free_vgpr 11
		.amdhsa_next_free_sgpr 19
		.amdhsa_reserve_vcc 1
		.amdhsa_reserve_flat_scratch 0
		.amdhsa_float_round_mode_32 0
		.amdhsa_float_round_mode_16_64 0
		.amdhsa_float_denorm_mode_32 3
		.amdhsa_float_denorm_mode_16_64 3
		.amdhsa_dx10_clamp 1
		.amdhsa_ieee_mode 1
		.amdhsa_fp16_overflow 0
		.amdhsa_exception_fp_ieee_invalid_op 0
		.amdhsa_exception_fp_denorm_src 0
		.amdhsa_exception_fp_ieee_div_zero 0
		.amdhsa_exception_fp_ieee_overflow 0
		.amdhsa_exception_fp_ieee_underflow 0
		.amdhsa_exception_fp_ieee_inexact 0
		.amdhsa_exception_int_div_zero 0
	.end_amdhsa_kernel
	.section	.text._ZN9rocsparseL16valset_2d_kernelILj256ElfEEvT0_S1_lT1_PS2_16rocsparse_order_,"axG",@progbits,_ZN9rocsparseL16valset_2d_kernelILj256ElfEEvT0_S1_lT1_PS2_16rocsparse_order_,comdat
.Lfunc_end44:
	.size	_ZN9rocsparseL16valset_2d_kernelILj256ElfEEvT0_S1_lT1_PS2_16rocsparse_order_, .Lfunc_end44-_ZN9rocsparseL16valset_2d_kernelILj256ElfEEvT0_S1_lT1_PS2_16rocsparse_order_
                                        ; -- End function
	.set _ZN9rocsparseL16valset_2d_kernelILj256ElfEEvT0_S1_lT1_PS2_16rocsparse_order_.num_vgpr, 11
	.set _ZN9rocsparseL16valset_2d_kernelILj256ElfEEvT0_S1_lT1_PS2_16rocsparse_order_.num_agpr, 0
	.set _ZN9rocsparseL16valset_2d_kernelILj256ElfEEvT0_S1_lT1_PS2_16rocsparse_order_.numbered_sgpr, 19
	.set _ZN9rocsparseL16valset_2d_kernelILj256ElfEEvT0_S1_lT1_PS2_16rocsparse_order_.num_named_barrier, 0
	.set _ZN9rocsparseL16valset_2d_kernelILj256ElfEEvT0_S1_lT1_PS2_16rocsparse_order_.private_seg_size, 0
	.set _ZN9rocsparseL16valset_2d_kernelILj256ElfEEvT0_S1_lT1_PS2_16rocsparse_order_.uses_vcc, 1
	.set _ZN9rocsparseL16valset_2d_kernelILj256ElfEEvT0_S1_lT1_PS2_16rocsparse_order_.uses_flat_scratch, 0
	.set _ZN9rocsparseL16valset_2d_kernelILj256ElfEEvT0_S1_lT1_PS2_16rocsparse_order_.has_dyn_sized_stack, 0
	.set _ZN9rocsparseL16valset_2d_kernelILj256ElfEEvT0_S1_lT1_PS2_16rocsparse_order_.has_recursion, 0
	.set _ZN9rocsparseL16valset_2d_kernelILj256ElfEEvT0_S1_lT1_PS2_16rocsparse_order_.has_indirect_call, 0
	.section	.AMDGPU.csdata,"",@progbits
; Kernel info:
; codeLenInByte = 960
; TotalNumSgprs: 23
; NumVgprs: 11
; ScratchSize: 0
; MemoryBound: 0
; FloatMode: 240
; IeeeMode: 1
; LDSByteSize: 0 bytes/workgroup (compile time only)
; SGPRBlocks: 2
; VGPRBlocks: 2
; NumSGPRsForWavesPerEU: 23
; NumVGPRsForWavesPerEU: 11
; Occupancy: 10
; WaveLimiterHint : 0
; COMPUTE_PGM_RSRC2:SCRATCH_EN: 0
; COMPUTE_PGM_RSRC2:USER_SGPR: 6
; COMPUTE_PGM_RSRC2:TRAP_HANDLER: 0
; COMPUTE_PGM_RSRC2:TGID_X_EN: 1
; COMPUTE_PGM_RSRC2:TGID_Y_EN: 0
; COMPUTE_PGM_RSRC2:TGID_Z_EN: 0
; COMPUTE_PGM_RSRC2:TIDIG_COMP_CNT: 0
	.section	.text._ZN9rocsparseL16valset_2d_kernelILj256EldEEvT0_S1_lT1_PS2_16rocsparse_order_,"axG",@progbits,_ZN9rocsparseL16valset_2d_kernelILj256EldEEvT0_S1_lT1_PS2_16rocsparse_order_,comdat
	.globl	_ZN9rocsparseL16valset_2d_kernelILj256EldEEvT0_S1_lT1_PS2_16rocsparse_order_ ; -- Begin function _ZN9rocsparseL16valset_2d_kernelILj256EldEEvT0_S1_lT1_PS2_16rocsparse_order_
	.p2align	8
	.type	_ZN9rocsparseL16valset_2d_kernelILj256EldEEvT0_S1_lT1_PS2_16rocsparse_order_,@function
_ZN9rocsparseL16valset_2d_kernelILj256EldEEvT0_S1_lT1_PS2_16rocsparse_order_: ; @_ZN9rocsparseL16valset_2d_kernelILj256EldEEvT0_S1_lT1_PS2_16rocsparse_order_
; %bb.0:
	s_load_dwordx8 s[8:15], s[4:5], 0x0
	v_mov_b32_e32 v1, 0
	v_lshl_or_b32 v0, s6, 8, v0
	s_waitcnt lgkmcnt(0)
	s_mul_i32 s0, s10, s9
	s_mul_hi_u32 s1, s10, s8
	s_add_i32 s0, s1, s0
	s_mul_i32 s1, s11, s8
	s_add_i32 s1, s0, s1
	s_mul_i32 s0, s10, s8
	v_cmp_gt_i64_e32 vcc, s[0:1], v[0:1]
	s_and_saveexec_b64 s[0:1], vcc
	s_cbranch_execz .LBB45_5
; %bb.1:
	s_load_dword s0, s[4:5], 0x28
	s_load_dwordx2 s[2:3], s[4:5], 0x20
	s_mov_b32 s4, 0
	s_waitcnt lgkmcnt(0)
	s_cmp_eq_u32 s0, 1
	s_cselect_b32 s5, s9, s11
	s_cselect_b32 s16, s8, s10
	s_cmp_lg_u64 s[4:5], 0
	s_cbranch_scc0 .LBB45_6
; %bb.2:
	s_ashr_i32 s6, s5, 31
	s_add_u32 s0, s16, s6
	s_mov_b32 s7, s6
	s_addc_u32 s1, s5, s6
	s_xor_b64 s[8:9], s[0:1], s[6:7]
	v_cvt_f32_u32_e32 v1, s8
	v_cvt_f32_u32_e32 v2, s9
	s_sub_u32 s4, 0, s8
	s_subb_u32 s7, 0, s9
	v_add_co_u32_e32 v5, vcc, 0, v0
	v_madmk_f32 v1, v2, 0x4f800000, v1
	v_rcp_f32_e32 v1, v1
	v_mul_f32_e32 v1, 0x5f7ffffc, v1
	v_mul_f32_e32 v2, 0x2f800000, v1
	v_trunc_f32_e32 v2, v2
	v_madmk_f32 v1, v2, 0xcf800000, v1
	v_cvt_u32_f32_e32 v2, v2
	v_cvt_u32_f32_e32 v1, v1
	v_readfirstlane_b32 s10, v2
	v_readfirstlane_b32 s0, v1
	s_mul_i32 s1, s4, s10
	s_mul_hi_u32 s17, s4, s0
	s_mul_i32 s11, s7, s0
	s_add_i32 s1, s17, s1
	s_add_i32 s1, s1, s11
	s_mul_i32 s18, s4, s0
	s_mul_i32 s17, s0, s1
	s_mul_hi_u32 s19, s0, s18
	s_mul_hi_u32 s11, s0, s1
	s_add_u32 s17, s19, s17
	s_addc_u32 s11, 0, s11
	s_mul_hi_u32 s20, s10, s18
	s_mul_i32 s18, s10, s18
	s_add_u32 s17, s17, s18
	s_mul_hi_u32 s19, s10, s1
	s_addc_u32 s11, s11, s20
	s_addc_u32 s17, s19, 0
	s_mul_i32 s1, s10, s1
	s_add_u32 s1, s11, s1
	s_addc_u32 s11, 0, s17
	s_add_u32 s17, s0, s1
	s_cselect_b64 s[0:1], -1, 0
	s_cmp_lg_u64 s[0:1], 0
	s_addc_u32 s10, s10, s11
	s_mul_i32 s0, s4, s10
	s_mul_hi_u32 s1, s4, s17
	s_add_i32 s0, s1, s0
	s_mul_i32 s7, s7, s17
	s_add_i32 s0, s0, s7
	s_mul_i32 s4, s4, s17
	s_mul_hi_u32 s7, s10, s4
	s_mul_i32 s11, s10, s4
	s_mul_i32 s19, s17, s0
	s_mul_hi_u32 s4, s17, s4
	s_mul_hi_u32 s18, s17, s0
	s_add_u32 s4, s4, s19
	s_addc_u32 s18, 0, s18
	s_add_u32 s4, s4, s11
	s_mul_hi_u32 s1, s10, s0
	s_addc_u32 s4, s18, s7
	s_addc_u32 s1, s1, 0
	s_mul_i32 s0, s10, s0
	s_add_u32 s0, s4, s0
	s_addc_u32 s4, 0, s1
	s_add_u32 s7, s17, s0
	s_cselect_b64 s[0:1], -1, 0
	s_cmp_lg_u64 s[0:1], 0
	s_addc_u32 s4, s10, s4
	v_mad_u64_u32 v[1:2], s[0:1], v5, s4, 0
	v_mul_hi_u32 v3, v5, s7
	v_addc_co_u32_e64 v6, s[0:1], 0, 0, vcc
	v_add_co_u32_e32 v7, vcc, v3, v1
	v_addc_co_u32_e32 v8, vcc, 0, v2, vcc
	v_mad_u64_u32 v[1:2], s[0:1], v6, s7, 0
	v_mad_u64_u32 v[3:4], s[0:1], v6, s4, 0
	v_add_co_u32_e32 v1, vcc, v7, v1
	v_addc_co_u32_e32 v1, vcc, v8, v2, vcc
	v_addc_co_u32_e32 v2, vcc, 0, v4, vcc
	v_add_co_u32_e32 v3, vcc, v1, v3
	v_addc_co_u32_e32 v4, vcc, 0, v2, vcc
	v_mul_lo_u32 v7, s9, v3
	v_mul_lo_u32 v8, s8, v4
	v_mad_u64_u32 v[1:2], s[0:1], s8, v3, 0
	v_add3_u32 v2, v2, v8, v7
	v_sub_u32_e32 v7, v6, v2
	v_mov_b32_e32 v8, s9
	v_sub_co_u32_e32 v1, vcc, v5, v1
	v_subb_co_u32_e64 v5, s[0:1], v7, v8, vcc
	v_subrev_co_u32_e64 v7, s[0:1], s8, v1
	v_subbrev_co_u32_e64 v5, s[0:1], 0, v5, s[0:1]
	v_cmp_le_u32_e64 s[0:1], s9, v5
	v_cndmask_b32_e64 v8, 0, -1, s[0:1]
	v_cmp_le_u32_e64 s[0:1], s8, v7
	v_cndmask_b32_e64 v7, 0, -1, s[0:1]
	v_cmp_eq_u32_e64 s[0:1], s9, v5
	v_cndmask_b32_e64 v5, v8, v7, s[0:1]
	v_add_co_u32_e64 v7, s[0:1], 2, v3
	v_subb_co_u32_e32 v2, vcc, v6, v2, vcc
	v_addc_co_u32_e64 v8, s[0:1], 0, v4, s[0:1]
	v_cmp_le_u32_e32 vcc, s9, v2
	v_add_co_u32_e64 v9, s[0:1], 1, v3
	v_cndmask_b32_e64 v6, 0, -1, vcc
	v_cmp_le_u32_e32 vcc, s8, v1
	v_addc_co_u32_e64 v10, s[0:1], 0, v4, s[0:1]
	v_cndmask_b32_e64 v1, 0, -1, vcc
	v_cmp_eq_u32_e32 vcc, s9, v2
	v_cmp_ne_u32_e64 s[0:1], 0, v5
	v_cndmask_b32_e32 v1, v6, v1, vcc
	v_cndmask_b32_e64 v5, v10, v8, s[0:1]
	v_cmp_ne_u32_e32 vcc, 0, v1
	v_cndmask_b32_e64 v2, v9, v7, s[0:1]
	v_cndmask_b32_e32 v1, v4, v5, vcc
	v_cndmask_b32_e32 v2, v3, v2, vcc
	v_xor_b32_e32 v3, s6, v1
	v_xor_b32_e32 v1, s6, v2
	v_mov_b32_e32 v2, s6
	v_subrev_co_u32_e32 v1, vcc, s6, v1
	v_subb_co_u32_e32 v2, vcc, v3, v2, vcc
	s_cbranch_execnz .LBB45_4
.LBB45_3:
	v_cvt_f32_u32_e32 v1, s16
	s_sub_i32 s0, 0, s16
	v_rcp_iflag_f32_e32 v1, v1
	v_mul_f32_e32 v1, 0x4f7ffffe, v1
	v_cvt_u32_f32_e32 v1, v1
	v_mul_lo_u32 v2, s0, v1
	v_mul_hi_u32 v2, v1, v2
	v_add_u32_e32 v1, v1, v2
	v_mul_hi_u32 v1, v0, v1
	v_mul_lo_u32 v2, v1, s16
	v_add_u32_e32 v3, 1, v1
	v_sub_u32_e32 v2, v0, v2
	v_subrev_u32_e32 v4, s16, v2
	v_cmp_le_u32_e32 vcc, s16, v2
	v_cndmask_b32_e32 v2, v2, v4, vcc
	v_cndmask_b32_e32 v1, v1, v3, vcc
	v_add_u32_e32 v3, 1, v1
	v_cmp_le_u32_e32 vcc, s16, v2
	v_cndmask_b32_e32 v1, v1, v3, vcc
	v_mov_b32_e32 v2, 0
.LBB45_4:
	v_mul_lo_u32 v7, v2, s16
	v_mul_lo_u32 v8, v1, s5
	v_mad_u64_u32 v[3:4], s[0:1], v1, s16, 0
	v_mov_b32_e32 v5, s14
	v_mov_b32_e32 v6, s15
	v_add3_u32 v4, v4, v8, v7
	v_mul_lo_u32 v7, v2, s12
	v_mul_lo_u32 v8, v1, s13
	v_mad_u64_u32 v[1:2], s[0:1], v1, s12, 0
	v_sub_co_u32_e32 v3, vcc, v0, v3
	v_subb_co_u32_e32 v4, vcc, 0, v4, vcc
	v_lshlrev_b64 v[3:4], 3, v[3:4]
	v_add3_u32 v2, v2, v8, v7
	v_mov_b32_e32 v0, s3
	v_add_co_u32_e32 v3, vcc, s2, v3
	v_addc_co_u32_e32 v4, vcc, v0, v4, vcc
	v_lshlrev_b64 v[0:1], 3, v[1:2]
	v_add_co_u32_e32 v0, vcc, v3, v0
	v_addc_co_u32_e32 v1, vcc, v4, v1, vcc
	global_store_dwordx2 v[0:1], v[5:6], off
.LBB45_5:
	s_endpgm
.LBB45_6:
                                        ; implicit-def: $vgpr1_vgpr2
	s_branch .LBB45_3
	.section	.rodata,"a",@progbits
	.p2align	6, 0x0
	.amdhsa_kernel _ZN9rocsparseL16valset_2d_kernelILj256EldEEvT0_S1_lT1_PS2_16rocsparse_order_
		.amdhsa_group_segment_fixed_size 0
		.amdhsa_private_segment_fixed_size 0
		.amdhsa_kernarg_size 44
		.amdhsa_user_sgpr_count 6
		.amdhsa_user_sgpr_private_segment_buffer 1
		.amdhsa_user_sgpr_dispatch_ptr 0
		.amdhsa_user_sgpr_queue_ptr 0
		.amdhsa_user_sgpr_kernarg_segment_ptr 1
		.amdhsa_user_sgpr_dispatch_id 0
		.amdhsa_user_sgpr_flat_scratch_init 0
		.amdhsa_user_sgpr_private_segment_size 0
		.amdhsa_uses_dynamic_stack 0
		.amdhsa_system_sgpr_private_segment_wavefront_offset 0
		.amdhsa_system_sgpr_workgroup_id_x 1
		.amdhsa_system_sgpr_workgroup_id_y 0
		.amdhsa_system_sgpr_workgroup_id_z 0
		.amdhsa_system_sgpr_workgroup_info 0
		.amdhsa_system_vgpr_workitem_id 0
		.amdhsa_next_free_vgpr 11
		.amdhsa_next_free_sgpr 21
		.amdhsa_reserve_vcc 1
		.amdhsa_reserve_flat_scratch 0
		.amdhsa_float_round_mode_32 0
		.amdhsa_float_round_mode_16_64 0
		.amdhsa_float_denorm_mode_32 3
		.amdhsa_float_denorm_mode_16_64 3
		.amdhsa_dx10_clamp 1
		.amdhsa_ieee_mode 1
		.amdhsa_fp16_overflow 0
		.amdhsa_exception_fp_ieee_invalid_op 0
		.amdhsa_exception_fp_denorm_src 0
		.amdhsa_exception_fp_ieee_div_zero 0
		.amdhsa_exception_fp_ieee_overflow 0
		.amdhsa_exception_fp_ieee_underflow 0
		.amdhsa_exception_fp_ieee_inexact 0
		.amdhsa_exception_int_div_zero 0
	.end_amdhsa_kernel
	.section	.text._ZN9rocsparseL16valset_2d_kernelILj256EldEEvT0_S1_lT1_PS2_16rocsparse_order_,"axG",@progbits,_ZN9rocsparseL16valset_2d_kernelILj256EldEEvT0_S1_lT1_PS2_16rocsparse_order_,comdat
.Lfunc_end45:
	.size	_ZN9rocsparseL16valset_2d_kernelILj256EldEEvT0_S1_lT1_PS2_16rocsparse_order_, .Lfunc_end45-_ZN9rocsparseL16valset_2d_kernelILj256EldEEvT0_S1_lT1_PS2_16rocsparse_order_
                                        ; -- End function
	.set _ZN9rocsparseL16valset_2d_kernelILj256EldEEvT0_S1_lT1_PS2_16rocsparse_order_.num_vgpr, 11
	.set _ZN9rocsparseL16valset_2d_kernelILj256EldEEvT0_S1_lT1_PS2_16rocsparse_order_.num_agpr, 0
	.set _ZN9rocsparseL16valset_2d_kernelILj256EldEEvT0_S1_lT1_PS2_16rocsparse_order_.numbered_sgpr, 21
	.set _ZN9rocsparseL16valset_2d_kernelILj256EldEEvT0_S1_lT1_PS2_16rocsparse_order_.num_named_barrier, 0
	.set _ZN9rocsparseL16valset_2d_kernelILj256EldEEvT0_S1_lT1_PS2_16rocsparse_order_.private_seg_size, 0
	.set _ZN9rocsparseL16valset_2d_kernelILj256EldEEvT0_S1_lT1_PS2_16rocsparse_order_.uses_vcc, 1
	.set _ZN9rocsparseL16valset_2d_kernelILj256EldEEvT0_S1_lT1_PS2_16rocsparse_order_.uses_flat_scratch, 0
	.set _ZN9rocsparseL16valset_2d_kernelILj256EldEEvT0_S1_lT1_PS2_16rocsparse_order_.has_dyn_sized_stack, 0
	.set _ZN9rocsparseL16valset_2d_kernelILj256EldEEvT0_S1_lT1_PS2_16rocsparse_order_.has_recursion, 0
	.set _ZN9rocsparseL16valset_2d_kernelILj256EldEEvT0_S1_lT1_PS2_16rocsparse_order_.has_indirect_call, 0
	.section	.AMDGPU.csdata,"",@progbits
; Kernel info:
; codeLenInByte = 944
; TotalNumSgprs: 25
; NumVgprs: 11
; ScratchSize: 0
; MemoryBound: 0
; FloatMode: 240
; IeeeMode: 1
; LDSByteSize: 0 bytes/workgroup (compile time only)
; SGPRBlocks: 3
; VGPRBlocks: 2
; NumSGPRsForWavesPerEU: 25
; NumVGPRsForWavesPerEU: 11
; Occupancy: 10
; WaveLimiterHint : 0
; COMPUTE_PGM_RSRC2:SCRATCH_EN: 0
; COMPUTE_PGM_RSRC2:USER_SGPR: 6
; COMPUTE_PGM_RSRC2:TRAP_HANDLER: 0
; COMPUTE_PGM_RSRC2:TGID_X_EN: 1
; COMPUTE_PGM_RSRC2:TGID_Y_EN: 0
; COMPUTE_PGM_RSRC2:TGID_Z_EN: 0
; COMPUTE_PGM_RSRC2:TIDIG_COMP_CNT: 0
	.section	.text._ZN9rocsparseL16valset_2d_kernelILj256El21rocsparse_complex_numIfEEEvT0_S3_lT1_PS4_16rocsparse_order_,"axG",@progbits,_ZN9rocsparseL16valset_2d_kernelILj256El21rocsparse_complex_numIfEEEvT0_S3_lT1_PS4_16rocsparse_order_,comdat
	.globl	_ZN9rocsparseL16valset_2d_kernelILj256El21rocsparse_complex_numIfEEEvT0_S3_lT1_PS4_16rocsparse_order_ ; -- Begin function _ZN9rocsparseL16valset_2d_kernelILj256El21rocsparse_complex_numIfEEEvT0_S3_lT1_PS4_16rocsparse_order_
	.p2align	8
	.type	_ZN9rocsparseL16valset_2d_kernelILj256El21rocsparse_complex_numIfEEEvT0_S3_lT1_PS4_16rocsparse_order_,@function
_ZN9rocsparseL16valset_2d_kernelILj256El21rocsparse_complex_numIfEEEvT0_S3_lT1_PS4_16rocsparse_order_: ; @_ZN9rocsparseL16valset_2d_kernelILj256El21rocsparse_complex_numIfEEEvT0_S3_lT1_PS4_16rocsparse_order_
; %bb.0:
	s_load_dwordx4 s[0:3], s[4:5], 0x0
	v_lshl_or_b32 v0, s6, 8, v0
	v_mov_b32_e32 v1, 0
	s_waitcnt lgkmcnt(0)
	s_mul_i32 s6, s2, s1
	s_mul_hi_u32 s7, s2, s0
	s_add_i32 s6, s7, s6
	s_mul_i32 s7, s3, s0
	s_add_i32 s7, s6, s7
	s_mul_i32 s6, s2, s0
	v_cmp_gt_i64_e32 vcc, s[6:7], v[0:1]
	s_and_saveexec_b64 s[6:7], vcc
	s_cbranch_execz .LBB46_5
; %bb.1:
	s_load_dword s6, s[4:5], 0x28
	s_load_dwordx4 s[8:11], s[4:5], 0x10
	s_waitcnt lgkmcnt(0)
	s_cmp_eq_u32 s6, 1
	s_cselect_b32 s3, s1, s3
	s_cselect_b32 s16, s0, s2
	s_mov_b32 s2, 0
	s_cmp_lg_u64 s[2:3], 0
	s_cbranch_scc0 .LBB46_6
; %bb.2:
	s_ashr_i32 s6, s3, 31
	s_add_u32 s0, s16, s6
	s_mov_b32 s7, s6
	s_addc_u32 s1, s3, s6
	s_xor_b64 s[12:13], s[0:1], s[6:7]
	v_cvt_f32_u32_e32 v1, s12
	v_cvt_f32_u32_e32 v2, s13
	s_sub_u32 s2, 0, s12
	s_subb_u32 s7, 0, s13
	v_add_co_u32_e32 v5, vcc, 0, v0
	v_madmk_f32 v1, v2, 0x4f800000, v1
	v_rcp_f32_e32 v1, v1
	v_mul_f32_e32 v1, 0x5f7ffffc, v1
	v_mul_f32_e32 v2, 0x2f800000, v1
	v_trunc_f32_e32 v2, v2
	v_madmk_f32 v1, v2, 0xcf800000, v1
	v_cvt_u32_f32_e32 v2, v2
	v_cvt_u32_f32_e32 v1, v1
	v_readfirstlane_b32 s14, v2
	v_readfirstlane_b32 s0, v1
	s_mul_i32 s1, s2, s14
	s_mul_hi_u32 s17, s2, s0
	s_mul_i32 s15, s7, s0
	s_add_i32 s1, s17, s1
	s_add_i32 s1, s1, s15
	s_mul_i32 s18, s2, s0
	s_mul_i32 s17, s0, s1
	s_mul_hi_u32 s19, s0, s18
	s_mul_hi_u32 s15, s0, s1
	s_add_u32 s17, s19, s17
	s_addc_u32 s15, 0, s15
	s_mul_hi_u32 s20, s14, s18
	s_mul_i32 s18, s14, s18
	s_add_u32 s17, s17, s18
	s_mul_hi_u32 s19, s14, s1
	s_addc_u32 s15, s15, s20
	s_addc_u32 s17, s19, 0
	s_mul_i32 s1, s14, s1
	s_add_u32 s1, s15, s1
	s_addc_u32 s15, 0, s17
	s_add_u32 s17, s0, s1
	s_cselect_b64 s[0:1], -1, 0
	s_cmp_lg_u64 s[0:1], 0
	s_addc_u32 s14, s14, s15
	s_mul_i32 s0, s2, s14
	s_mul_hi_u32 s1, s2, s17
	s_add_i32 s0, s1, s0
	s_mul_i32 s7, s7, s17
	s_add_i32 s0, s0, s7
	s_mul_i32 s2, s2, s17
	s_mul_hi_u32 s7, s14, s2
	s_mul_i32 s15, s14, s2
	s_mul_i32 s19, s17, s0
	s_mul_hi_u32 s2, s17, s2
	s_mul_hi_u32 s18, s17, s0
	s_add_u32 s2, s2, s19
	s_addc_u32 s18, 0, s18
	s_add_u32 s2, s2, s15
	s_mul_hi_u32 s1, s14, s0
	s_addc_u32 s2, s18, s7
	s_addc_u32 s1, s1, 0
	s_mul_i32 s0, s14, s0
	s_add_u32 s0, s2, s0
	s_addc_u32 s2, 0, s1
	s_add_u32 s7, s17, s0
	s_cselect_b64 s[0:1], -1, 0
	s_cmp_lg_u64 s[0:1], 0
	s_addc_u32 s2, s14, s2
	v_mad_u64_u32 v[1:2], s[0:1], v5, s2, 0
	v_mul_hi_u32 v3, v5, s7
	v_addc_co_u32_e64 v6, s[0:1], 0, 0, vcc
	v_add_co_u32_e32 v7, vcc, v3, v1
	v_addc_co_u32_e32 v8, vcc, 0, v2, vcc
	v_mad_u64_u32 v[1:2], s[0:1], v6, s7, 0
	v_mad_u64_u32 v[3:4], s[0:1], v6, s2, 0
	v_add_co_u32_e32 v1, vcc, v7, v1
	v_addc_co_u32_e32 v1, vcc, v8, v2, vcc
	v_addc_co_u32_e32 v2, vcc, 0, v4, vcc
	v_add_co_u32_e32 v3, vcc, v1, v3
	v_addc_co_u32_e32 v4, vcc, 0, v2, vcc
	v_mul_lo_u32 v7, s13, v3
	v_mul_lo_u32 v8, s12, v4
	v_mad_u64_u32 v[1:2], s[0:1], s12, v3, 0
	v_add3_u32 v2, v2, v8, v7
	v_sub_u32_e32 v7, v6, v2
	v_mov_b32_e32 v8, s13
	v_sub_co_u32_e32 v1, vcc, v5, v1
	v_subb_co_u32_e64 v5, s[0:1], v7, v8, vcc
	v_subrev_co_u32_e64 v7, s[0:1], s12, v1
	v_subbrev_co_u32_e64 v5, s[0:1], 0, v5, s[0:1]
	v_cmp_le_u32_e64 s[0:1], s13, v5
	v_cndmask_b32_e64 v8, 0, -1, s[0:1]
	v_cmp_le_u32_e64 s[0:1], s12, v7
	v_cndmask_b32_e64 v7, 0, -1, s[0:1]
	v_cmp_eq_u32_e64 s[0:1], s13, v5
	v_cndmask_b32_e64 v5, v8, v7, s[0:1]
	v_add_co_u32_e64 v7, s[0:1], 2, v3
	v_subb_co_u32_e32 v2, vcc, v6, v2, vcc
	v_addc_co_u32_e64 v8, s[0:1], 0, v4, s[0:1]
	v_cmp_le_u32_e32 vcc, s13, v2
	v_add_co_u32_e64 v9, s[0:1], 1, v3
	v_cndmask_b32_e64 v6, 0, -1, vcc
	v_cmp_le_u32_e32 vcc, s12, v1
	v_addc_co_u32_e64 v10, s[0:1], 0, v4, s[0:1]
	v_cndmask_b32_e64 v1, 0, -1, vcc
	v_cmp_eq_u32_e32 vcc, s13, v2
	v_cmp_ne_u32_e64 s[0:1], 0, v5
	v_cndmask_b32_e32 v1, v6, v1, vcc
	v_cndmask_b32_e64 v5, v10, v8, s[0:1]
	v_cmp_ne_u32_e32 vcc, 0, v1
	v_cndmask_b32_e64 v2, v9, v7, s[0:1]
	v_cndmask_b32_e32 v1, v4, v5, vcc
	v_cndmask_b32_e32 v2, v3, v2, vcc
	v_xor_b32_e32 v3, s6, v1
	v_xor_b32_e32 v1, s6, v2
	v_mov_b32_e32 v2, s6
	v_subrev_co_u32_e32 v1, vcc, s6, v1
	v_subb_co_u32_e32 v2, vcc, v3, v2, vcc
	s_cbranch_execnz .LBB46_4
.LBB46_3:
	v_cvt_f32_u32_e32 v1, s16
	s_sub_i32 s0, 0, s16
	v_rcp_iflag_f32_e32 v1, v1
	v_mul_f32_e32 v1, 0x4f7ffffe, v1
	v_cvt_u32_f32_e32 v1, v1
	v_mul_lo_u32 v2, s0, v1
	v_mul_hi_u32 v2, v1, v2
	v_add_u32_e32 v1, v1, v2
	v_mul_hi_u32 v1, v0, v1
	v_mul_lo_u32 v2, v1, s16
	v_add_u32_e32 v3, 1, v1
	v_sub_u32_e32 v2, v0, v2
	v_subrev_u32_e32 v4, s16, v2
	v_cmp_le_u32_e32 vcc, s16, v2
	v_cndmask_b32_e32 v2, v2, v4, vcc
	v_cndmask_b32_e32 v1, v1, v3, vcc
	v_add_u32_e32 v3, 1, v1
	v_cmp_le_u32_e32 vcc, s16, v2
	v_cndmask_b32_e32 v1, v1, v3, vcc
	v_mov_b32_e32 v2, 0
.LBB46_4:
	v_mul_lo_u32 v5, v2, s16
	v_mul_lo_u32 v6, v1, s3
	v_mad_u64_u32 v[3:4], s[0:1], v1, s16, 0
	s_load_dwordx2 s[0:1], s[4:5], 0x20
	v_add3_u32 v4, v4, v6, v5
	v_mul_lo_u32 v5, v2, s8
	v_mul_lo_u32 v6, v1, s9
	v_mad_u64_u32 v[1:2], s[2:3], v1, s8, 0
	v_sub_co_u32_e32 v3, vcc, v0, v3
	v_subb_co_u32_e32 v4, vcc, 0, v4, vcc
	v_lshlrev_b64 v[3:4], 3, v[3:4]
	v_add3_u32 v2, v2, v6, v5
	s_waitcnt lgkmcnt(0)
	v_mov_b32_e32 v0, s1
	v_add_co_u32_e32 v3, vcc, s0, v3
	v_addc_co_u32_e32 v4, vcc, v0, v4, vcc
	v_lshlrev_b64 v[0:1], 3, v[1:2]
	v_add_co_u32_e32 v0, vcc, v3, v0
	v_mov_b32_e32 v2, s10
	v_addc_co_u32_e32 v1, vcc, v4, v1, vcc
	v_mov_b32_e32 v3, s11
	global_store_dwordx2 v[0:1], v[2:3], off
.LBB46_5:
	s_endpgm
.LBB46_6:
                                        ; implicit-def: $vgpr1_vgpr2
	s_branch .LBB46_3
	.section	.rodata,"a",@progbits
	.p2align	6, 0x0
	.amdhsa_kernel _ZN9rocsparseL16valset_2d_kernelILj256El21rocsparse_complex_numIfEEEvT0_S3_lT1_PS4_16rocsparse_order_
		.amdhsa_group_segment_fixed_size 0
		.amdhsa_private_segment_fixed_size 0
		.amdhsa_kernarg_size 44
		.amdhsa_user_sgpr_count 6
		.amdhsa_user_sgpr_private_segment_buffer 1
		.amdhsa_user_sgpr_dispatch_ptr 0
		.amdhsa_user_sgpr_queue_ptr 0
		.amdhsa_user_sgpr_kernarg_segment_ptr 1
		.amdhsa_user_sgpr_dispatch_id 0
		.amdhsa_user_sgpr_flat_scratch_init 0
		.amdhsa_user_sgpr_private_segment_size 0
		.amdhsa_uses_dynamic_stack 0
		.amdhsa_system_sgpr_private_segment_wavefront_offset 0
		.amdhsa_system_sgpr_workgroup_id_x 1
		.amdhsa_system_sgpr_workgroup_id_y 0
		.amdhsa_system_sgpr_workgroup_id_z 0
		.amdhsa_system_sgpr_workgroup_info 0
		.amdhsa_system_vgpr_workitem_id 0
		.amdhsa_next_free_vgpr 11
		.amdhsa_next_free_sgpr 21
		.amdhsa_reserve_vcc 1
		.amdhsa_reserve_flat_scratch 0
		.amdhsa_float_round_mode_32 0
		.amdhsa_float_round_mode_16_64 0
		.amdhsa_float_denorm_mode_32 3
		.amdhsa_float_denorm_mode_16_64 3
		.amdhsa_dx10_clamp 1
		.amdhsa_ieee_mode 1
		.amdhsa_fp16_overflow 0
		.amdhsa_exception_fp_ieee_invalid_op 0
		.amdhsa_exception_fp_denorm_src 0
		.amdhsa_exception_fp_ieee_div_zero 0
		.amdhsa_exception_fp_ieee_overflow 0
		.amdhsa_exception_fp_ieee_underflow 0
		.amdhsa_exception_fp_ieee_inexact 0
		.amdhsa_exception_int_div_zero 0
	.end_amdhsa_kernel
	.section	.text._ZN9rocsparseL16valset_2d_kernelILj256El21rocsparse_complex_numIfEEEvT0_S3_lT1_PS4_16rocsparse_order_,"axG",@progbits,_ZN9rocsparseL16valset_2d_kernelILj256El21rocsparse_complex_numIfEEEvT0_S3_lT1_PS4_16rocsparse_order_,comdat
.Lfunc_end46:
	.size	_ZN9rocsparseL16valset_2d_kernelILj256El21rocsparse_complex_numIfEEEvT0_S3_lT1_PS4_16rocsparse_order_, .Lfunc_end46-_ZN9rocsparseL16valset_2d_kernelILj256El21rocsparse_complex_numIfEEEvT0_S3_lT1_PS4_16rocsparse_order_
                                        ; -- End function
	.set _ZN9rocsparseL16valset_2d_kernelILj256El21rocsparse_complex_numIfEEEvT0_S3_lT1_PS4_16rocsparse_order_.num_vgpr, 11
	.set _ZN9rocsparseL16valset_2d_kernelILj256El21rocsparse_complex_numIfEEEvT0_S3_lT1_PS4_16rocsparse_order_.num_agpr, 0
	.set _ZN9rocsparseL16valset_2d_kernelILj256El21rocsparse_complex_numIfEEEvT0_S3_lT1_PS4_16rocsparse_order_.numbered_sgpr, 21
	.set _ZN9rocsparseL16valset_2d_kernelILj256El21rocsparse_complex_numIfEEEvT0_S3_lT1_PS4_16rocsparse_order_.num_named_barrier, 0
	.set _ZN9rocsparseL16valset_2d_kernelILj256El21rocsparse_complex_numIfEEEvT0_S3_lT1_PS4_16rocsparse_order_.private_seg_size, 0
	.set _ZN9rocsparseL16valset_2d_kernelILj256El21rocsparse_complex_numIfEEEvT0_S3_lT1_PS4_16rocsparse_order_.uses_vcc, 1
	.set _ZN9rocsparseL16valset_2d_kernelILj256El21rocsparse_complex_numIfEEEvT0_S3_lT1_PS4_16rocsparse_order_.uses_flat_scratch, 0
	.set _ZN9rocsparseL16valset_2d_kernelILj256El21rocsparse_complex_numIfEEEvT0_S3_lT1_PS4_16rocsparse_order_.has_dyn_sized_stack, 0
	.set _ZN9rocsparseL16valset_2d_kernelILj256El21rocsparse_complex_numIfEEEvT0_S3_lT1_PS4_16rocsparse_order_.has_recursion, 0
	.set _ZN9rocsparseL16valset_2d_kernelILj256El21rocsparse_complex_numIfEEEvT0_S3_lT1_PS4_16rocsparse_order_.has_indirect_call, 0
	.section	.AMDGPU.csdata,"",@progbits
; Kernel info:
; codeLenInByte = 956
; TotalNumSgprs: 25
; NumVgprs: 11
; ScratchSize: 0
; MemoryBound: 0
; FloatMode: 240
; IeeeMode: 1
; LDSByteSize: 0 bytes/workgroup (compile time only)
; SGPRBlocks: 3
; VGPRBlocks: 2
; NumSGPRsForWavesPerEU: 25
; NumVGPRsForWavesPerEU: 11
; Occupancy: 10
; WaveLimiterHint : 0
; COMPUTE_PGM_RSRC2:SCRATCH_EN: 0
; COMPUTE_PGM_RSRC2:USER_SGPR: 6
; COMPUTE_PGM_RSRC2:TRAP_HANDLER: 0
; COMPUTE_PGM_RSRC2:TGID_X_EN: 1
; COMPUTE_PGM_RSRC2:TGID_Y_EN: 0
; COMPUTE_PGM_RSRC2:TGID_Z_EN: 0
; COMPUTE_PGM_RSRC2:TIDIG_COMP_CNT: 0
	.section	.text._ZN9rocsparseL16valset_2d_kernelILj256El21rocsparse_complex_numIdEEEvT0_S3_lT1_PS4_16rocsparse_order_,"axG",@progbits,_ZN9rocsparseL16valset_2d_kernelILj256El21rocsparse_complex_numIdEEEvT0_S3_lT1_PS4_16rocsparse_order_,comdat
	.globl	_ZN9rocsparseL16valset_2d_kernelILj256El21rocsparse_complex_numIdEEEvT0_S3_lT1_PS4_16rocsparse_order_ ; -- Begin function _ZN9rocsparseL16valset_2d_kernelILj256El21rocsparse_complex_numIdEEEvT0_S3_lT1_PS4_16rocsparse_order_
	.p2align	8
	.type	_ZN9rocsparseL16valset_2d_kernelILj256El21rocsparse_complex_numIdEEEvT0_S3_lT1_PS4_16rocsparse_order_,@function
_ZN9rocsparseL16valset_2d_kernelILj256El21rocsparse_complex_numIdEEEvT0_S3_lT1_PS4_16rocsparse_order_: ; @_ZN9rocsparseL16valset_2d_kernelILj256El21rocsparse_complex_numIdEEEvT0_S3_lT1_PS4_16rocsparse_order_
; %bb.0:
	s_load_dwordx4 s[0:3], s[4:5], 0x0
	v_lshl_or_b32 v0, s6, 8, v0
	v_mov_b32_e32 v1, 0
	s_waitcnt lgkmcnt(0)
	s_mul_i32 s6, s2, s1
	s_mul_hi_u32 s7, s2, s0
	s_add_i32 s6, s7, s6
	s_mul_i32 s7, s3, s0
	s_add_i32 s7, s6, s7
	s_mul_i32 s6, s2, s0
	v_cmp_gt_i64_e32 vcc, s[6:7], v[0:1]
	s_and_saveexec_b64 s[6:7], vcc
	s_cbranch_execz .LBB47_5
; %bb.1:
	s_load_dword s8, s[4:5], 0x30
	s_load_dwordx2 s[6:7], s[4:5], 0x10
	s_waitcnt lgkmcnt(0)
	s_cmp_eq_u32 s8, 1
	s_cselect_b32 s9, s1, s3
	s_mov_b32 s8, 0
	s_cselect_b32 s14, s0, s2
	s_cmp_lg_u64 s[8:9], 0
	s_cbranch_scc0 .LBB47_6
; %bb.2:
	s_ashr_i32 s2, s9, 31
	s_add_u32 s0, s14, s2
	s_mov_b32 s3, s2
	s_addc_u32 s1, s9, s2
	s_xor_b64 s[10:11], s[0:1], s[2:3]
	v_cvt_f32_u32_e32 v1, s10
	v_cvt_f32_u32_e32 v2, s11
	s_sub_u32 s3, 0, s10
	s_subb_u32 s8, 0, s11
	v_add_co_u32_e32 v5, vcc, 0, v0
	v_madmk_f32 v1, v2, 0x4f800000, v1
	v_rcp_f32_e32 v1, v1
	v_mul_f32_e32 v1, 0x5f7ffffc, v1
	v_mul_f32_e32 v2, 0x2f800000, v1
	v_trunc_f32_e32 v2, v2
	v_madmk_f32 v1, v2, 0xcf800000, v1
	v_cvt_u32_f32_e32 v2, v2
	v_cvt_u32_f32_e32 v1, v1
	v_readfirstlane_b32 s12, v2
	v_readfirstlane_b32 s0, v1
	s_mul_i32 s1, s3, s12
	s_mul_hi_u32 s15, s3, s0
	s_mul_i32 s13, s8, s0
	s_add_i32 s1, s15, s1
	s_add_i32 s1, s1, s13
	s_mul_i32 s16, s3, s0
	s_mul_i32 s15, s0, s1
	s_mul_hi_u32 s17, s0, s16
	s_mul_hi_u32 s13, s0, s1
	s_add_u32 s15, s17, s15
	s_addc_u32 s13, 0, s13
	s_mul_hi_u32 s18, s12, s16
	s_mul_i32 s16, s12, s16
	s_add_u32 s15, s15, s16
	s_mul_hi_u32 s17, s12, s1
	s_addc_u32 s13, s13, s18
	s_addc_u32 s15, s17, 0
	s_mul_i32 s1, s12, s1
	s_add_u32 s1, s13, s1
	s_addc_u32 s13, 0, s15
	s_add_u32 s15, s0, s1
	s_cselect_b64 s[0:1], -1, 0
	s_cmp_lg_u64 s[0:1], 0
	s_addc_u32 s12, s12, s13
	s_mul_i32 s0, s3, s12
	s_mul_hi_u32 s1, s3, s15
	s_add_i32 s0, s1, s0
	s_mul_i32 s8, s8, s15
	s_add_i32 s0, s0, s8
	s_mul_i32 s3, s3, s15
	s_mul_hi_u32 s8, s12, s3
	s_mul_i32 s13, s12, s3
	s_mul_i32 s17, s15, s0
	s_mul_hi_u32 s3, s15, s3
	s_mul_hi_u32 s16, s15, s0
	s_add_u32 s3, s3, s17
	s_addc_u32 s16, 0, s16
	s_add_u32 s3, s3, s13
	s_mul_hi_u32 s1, s12, s0
	s_addc_u32 s3, s16, s8
	s_addc_u32 s1, s1, 0
	s_mul_i32 s0, s12, s0
	s_add_u32 s0, s3, s0
	s_addc_u32 s3, 0, s1
	s_add_u32 s8, s15, s0
	s_cselect_b64 s[0:1], -1, 0
	s_cmp_lg_u64 s[0:1], 0
	s_addc_u32 s3, s12, s3
	v_mad_u64_u32 v[1:2], s[0:1], v5, s3, 0
	v_mul_hi_u32 v3, v5, s8
	v_addc_co_u32_e64 v6, s[0:1], 0, 0, vcc
	v_add_co_u32_e32 v7, vcc, v3, v1
	v_addc_co_u32_e32 v8, vcc, 0, v2, vcc
	v_mad_u64_u32 v[1:2], s[0:1], v6, s8, 0
	v_mad_u64_u32 v[3:4], s[0:1], v6, s3, 0
	v_add_co_u32_e32 v1, vcc, v7, v1
	v_addc_co_u32_e32 v1, vcc, v8, v2, vcc
	v_addc_co_u32_e32 v2, vcc, 0, v4, vcc
	v_add_co_u32_e32 v3, vcc, v1, v3
	v_addc_co_u32_e32 v4, vcc, 0, v2, vcc
	v_mul_lo_u32 v7, s11, v3
	v_mul_lo_u32 v8, s10, v4
	v_mad_u64_u32 v[1:2], s[0:1], s10, v3, 0
	v_add3_u32 v2, v2, v8, v7
	v_sub_u32_e32 v7, v6, v2
	v_mov_b32_e32 v8, s11
	v_sub_co_u32_e32 v1, vcc, v5, v1
	v_subb_co_u32_e64 v5, s[0:1], v7, v8, vcc
	v_subrev_co_u32_e64 v7, s[0:1], s10, v1
	v_subbrev_co_u32_e64 v5, s[0:1], 0, v5, s[0:1]
	v_cmp_le_u32_e64 s[0:1], s11, v5
	v_cndmask_b32_e64 v8, 0, -1, s[0:1]
	v_cmp_le_u32_e64 s[0:1], s10, v7
	v_cndmask_b32_e64 v7, 0, -1, s[0:1]
	v_cmp_eq_u32_e64 s[0:1], s11, v5
	v_cndmask_b32_e64 v5, v8, v7, s[0:1]
	v_add_co_u32_e64 v7, s[0:1], 2, v3
	v_subb_co_u32_e32 v2, vcc, v6, v2, vcc
	v_addc_co_u32_e64 v8, s[0:1], 0, v4, s[0:1]
	v_cmp_le_u32_e32 vcc, s11, v2
	v_add_co_u32_e64 v9, s[0:1], 1, v3
	v_cndmask_b32_e64 v6, 0, -1, vcc
	v_cmp_le_u32_e32 vcc, s10, v1
	v_addc_co_u32_e64 v10, s[0:1], 0, v4, s[0:1]
	v_cndmask_b32_e64 v1, 0, -1, vcc
	v_cmp_eq_u32_e32 vcc, s11, v2
	v_cmp_ne_u32_e64 s[0:1], 0, v5
	v_cndmask_b32_e32 v1, v6, v1, vcc
	v_cndmask_b32_e64 v5, v10, v8, s[0:1]
	v_cmp_ne_u32_e32 vcc, 0, v1
	v_cndmask_b32_e64 v2, v9, v7, s[0:1]
	v_cndmask_b32_e32 v1, v4, v5, vcc
	v_cndmask_b32_e32 v2, v3, v2, vcc
	v_xor_b32_e32 v3, s2, v1
	v_xor_b32_e32 v1, s2, v2
	v_mov_b32_e32 v2, s2
	v_subrev_co_u32_e32 v1, vcc, s2, v1
	v_subb_co_u32_e32 v2, vcc, v3, v2, vcc
	s_load_dwordx4 s[0:3], s[4:5], 0x18
	s_cbranch_execnz .LBB47_4
.LBB47_3:
	v_cvt_f32_u32_e32 v1, s14
	s_sub_i32 s8, 0, s14
	v_rcp_iflag_f32_e32 v1, v1
	v_mul_f32_e32 v1, 0x4f7ffffe, v1
	v_cvt_u32_f32_e32 v1, v1
	v_mul_lo_u32 v2, s8, v1
	v_mul_hi_u32 v2, v1, v2
	v_add_u32_e32 v1, v1, v2
	v_mul_hi_u32 v1, v0, v1
	v_mul_lo_u32 v2, v1, s14
	v_add_u32_e32 v3, 1, v1
	v_sub_u32_e32 v2, v0, v2
	v_subrev_u32_e32 v4, s14, v2
	v_cmp_le_u32_e32 vcc, s14, v2
	v_cndmask_b32_e32 v2, v2, v4, vcc
	v_cndmask_b32_e32 v1, v1, v3, vcc
	v_add_u32_e32 v3, 1, v1
	v_cmp_le_u32_e32 vcc, s14, v2
	v_cndmask_b32_e32 v1, v1, v3, vcc
	v_mov_b32_e32 v2, 0
.LBB47_4:
	v_mul_lo_u32 v5, v2, s14
	v_mul_lo_u32 v6, v1, s9
	v_mad_u64_u32 v[3:4], s[8:9], v1, s14, 0
	s_load_dwordx2 s[4:5], s[4:5], 0x28
	v_add3_u32 v4, v4, v6, v5
	v_mul_lo_u32 v5, v2, s6
	v_mul_lo_u32 v6, v1, s7
	v_mad_u64_u32 v[1:2], s[6:7], v1, s6, 0
	v_sub_co_u32_e32 v3, vcc, v0, v3
	v_subb_co_u32_e32 v4, vcc, 0, v4, vcc
	v_lshlrev_b64 v[3:4], 4, v[3:4]
	v_add3_u32 v2, v2, v6, v5
	s_waitcnt lgkmcnt(0)
	v_mov_b32_e32 v0, s5
	v_add_co_u32_e32 v3, vcc, s4, v3
	v_addc_co_u32_e32 v5, vcc, v0, v4, vcc
	v_lshlrev_b64 v[0:1], 4, v[1:2]
	v_add_co_u32_e32 v4, vcc, v3, v0
	v_addc_co_u32_e32 v5, vcc, v5, v1, vcc
	v_mov_b32_e32 v0, s0
	v_mov_b32_e32 v1, s1
	;; [unrolled: 1-line block ×4, first 2 shown]
	global_store_dwordx4 v[4:5], v[0:3], off
.LBB47_5:
	s_endpgm
.LBB47_6:
                                        ; implicit-def: $vgpr1_vgpr2
	s_load_dwordx4 s[0:3], s[4:5], 0x18
	s_branch .LBB47_3
	.section	.rodata,"a",@progbits
	.p2align	6, 0x0
	.amdhsa_kernel _ZN9rocsparseL16valset_2d_kernelILj256El21rocsparse_complex_numIdEEEvT0_S3_lT1_PS4_16rocsparse_order_
		.amdhsa_group_segment_fixed_size 0
		.amdhsa_private_segment_fixed_size 0
		.amdhsa_kernarg_size 52
		.amdhsa_user_sgpr_count 6
		.amdhsa_user_sgpr_private_segment_buffer 1
		.amdhsa_user_sgpr_dispatch_ptr 0
		.amdhsa_user_sgpr_queue_ptr 0
		.amdhsa_user_sgpr_kernarg_segment_ptr 1
		.amdhsa_user_sgpr_dispatch_id 0
		.amdhsa_user_sgpr_flat_scratch_init 0
		.amdhsa_user_sgpr_private_segment_size 0
		.amdhsa_uses_dynamic_stack 0
		.amdhsa_system_sgpr_private_segment_wavefront_offset 0
		.amdhsa_system_sgpr_workgroup_id_x 1
		.amdhsa_system_sgpr_workgroup_id_y 0
		.amdhsa_system_sgpr_workgroup_id_z 0
		.amdhsa_system_sgpr_workgroup_info 0
		.amdhsa_system_vgpr_workitem_id 0
		.amdhsa_next_free_vgpr 11
		.amdhsa_next_free_sgpr 19
		.amdhsa_reserve_vcc 1
		.amdhsa_reserve_flat_scratch 0
		.amdhsa_float_round_mode_32 0
		.amdhsa_float_round_mode_16_64 0
		.amdhsa_float_denorm_mode_32 3
		.amdhsa_float_denorm_mode_16_64 3
		.amdhsa_dx10_clamp 1
		.amdhsa_ieee_mode 1
		.amdhsa_fp16_overflow 0
		.amdhsa_exception_fp_ieee_invalid_op 0
		.amdhsa_exception_fp_denorm_src 0
		.amdhsa_exception_fp_ieee_div_zero 0
		.amdhsa_exception_fp_ieee_overflow 0
		.amdhsa_exception_fp_ieee_underflow 0
		.amdhsa_exception_fp_ieee_inexact 0
		.amdhsa_exception_int_div_zero 0
	.end_amdhsa_kernel
	.section	.text._ZN9rocsparseL16valset_2d_kernelILj256El21rocsparse_complex_numIdEEEvT0_S3_lT1_PS4_16rocsparse_order_,"axG",@progbits,_ZN9rocsparseL16valset_2d_kernelILj256El21rocsparse_complex_numIdEEEvT0_S3_lT1_PS4_16rocsparse_order_,comdat
.Lfunc_end47:
	.size	_ZN9rocsparseL16valset_2d_kernelILj256El21rocsparse_complex_numIdEEEvT0_S3_lT1_PS4_16rocsparse_order_, .Lfunc_end47-_ZN9rocsparseL16valset_2d_kernelILj256El21rocsparse_complex_numIdEEEvT0_S3_lT1_PS4_16rocsparse_order_
                                        ; -- End function
	.set _ZN9rocsparseL16valset_2d_kernelILj256El21rocsparse_complex_numIdEEEvT0_S3_lT1_PS4_16rocsparse_order_.num_vgpr, 11
	.set _ZN9rocsparseL16valset_2d_kernelILj256El21rocsparse_complex_numIdEEEvT0_S3_lT1_PS4_16rocsparse_order_.num_agpr, 0
	.set _ZN9rocsparseL16valset_2d_kernelILj256El21rocsparse_complex_numIdEEEvT0_S3_lT1_PS4_16rocsparse_order_.numbered_sgpr, 19
	.set _ZN9rocsparseL16valset_2d_kernelILj256El21rocsparse_complex_numIdEEEvT0_S3_lT1_PS4_16rocsparse_order_.num_named_barrier, 0
	.set _ZN9rocsparseL16valset_2d_kernelILj256El21rocsparse_complex_numIdEEEvT0_S3_lT1_PS4_16rocsparse_order_.private_seg_size, 0
	.set _ZN9rocsparseL16valset_2d_kernelILj256El21rocsparse_complex_numIdEEEvT0_S3_lT1_PS4_16rocsparse_order_.uses_vcc, 1
	.set _ZN9rocsparseL16valset_2d_kernelILj256El21rocsparse_complex_numIdEEEvT0_S3_lT1_PS4_16rocsparse_order_.uses_flat_scratch, 0
	.set _ZN9rocsparseL16valset_2d_kernelILj256El21rocsparse_complex_numIdEEEvT0_S3_lT1_PS4_16rocsparse_order_.has_dyn_sized_stack, 0
	.set _ZN9rocsparseL16valset_2d_kernelILj256El21rocsparse_complex_numIdEEEvT0_S3_lT1_PS4_16rocsparse_order_.has_recursion, 0
	.set _ZN9rocsparseL16valset_2d_kernelILj256El21rocsparse_complex_numIdEEEvT0_S3_lT1_PS4_16rocsparse_order_.has_indirect_call, 0
	.section	.AMDGPU.csdata,"",@progbits
; Kernel info:
; codeLenInByte = 980
; TotalNumSgprs: 23
; NumVgprs: 11
; ScratchSize: 0
; MemoryBound: 0
; FloatMode: 240
; IeeeMode: 1
; LDSByteSize: 0 bytes/workgroup (compile time only)
; SGPRBlocks: 2
; VGPRBlocks: 2
; NumSGPRsForWavesPerEU: 23
; NumVGPRsForWavesPerEU: 11
; Occupancy: 10
; WaveLimiterHint : 0
; COMPUTE_PGM_RSRC2:SCRATCH_EN: 0
; COMPUTE_PGM_RSRC2:USER_SGPR: 6
; COMPUTE_PGM_RSRC2:TRAP_HANDLER: 0
; COMPUTE_PGM_RSRC2:TGID_X_EN: 1
; COMPUTE_PGM_RSRC2:TGID_Y_EN: 0
; COMPUTE_PGM_RSRC2:TGID_Z_EN: 0
; COMPUTE_PGM_RSRC2:TIDIG_COMP_CNT: 0
	.section	.text._ZN9rocsparseL12scale_kernelILj256Ei18rocsparse_bfloat16fEEvT0_NS_24const_host_device_scalarIT2_EEPT1_b,"axG",@progbits,_ZN9rocsparseL12scale_kernelILj256Ei18rocsparse_bfloat16fEEvT0_NS_24const_host_device_scalarIT2_EEPT1_b,comdat
	.globl	_ZN9rocsparseL12scale_kernelILj256Ei18rocsparse_bfloat16fEEvT0_NS_24const_host_device_scalarIT2_EEPT1_b ; -- Begin function _ZN9rocsparseL12scale_kernelILj256Ei18rocsparse_bfloat16fEEvT0_NS_24const_host_device_scalarIT2_EEPT1_b
	.p2align	8
	.type	_ZN9rocsparseL12scale_kernelILj256Ei18rocsparse_bfloat16fEEvT0_NS_24const_host_device_scalarIT2_EEPT1_b,@function
_ZN9rocsparseL12scale_kernelILj256Ei18rocsparse_bfloat16fEEvT0_NS_24const_host_device_scalarIT2_EEPT1_b: ; @_ZN9rocsparseL12scale_kernelILj256Ei18rocsparse_bfloat16fEEvT0_NS_24const_host_device_scalarIT2_EEPT1_b
; %bb.0:
	s_load_dword s2, s[4:5], 0x18
	s_load_dwordx2 s[0:1], s[4:5], 0x8
	s_waitcnt lgkmcnt(0)
	s_bitcmp1_b32 s2, 0
	s_cselect_b64 s[2:3], -1, 0
	s_and_b64 vcc, exec, s[2:3]
	s_cbranch_vccnz .LBB48_2
; %bb.1:
	s_load_dword s0, s[0:1], 0x0
.LBB48_2:
	s_nop 0
	s_load_dword s1, s[4:5], 0x0
	v_lshl_or_b32 v0, s6, 8, v0
	s_waitcnt lgkmcnt(0)
	v_cmp_neq_f32_e64 s[2:3], s0, 1.0
	v_cmp_gt_i32_e32 vcc, s1, v0
	v_cmp_eq_f32_e64 s[0:1], s0, 0
	s_and_b64 s[0:1], vcc, s[0:1]
	s_and_b64 s[0:1], s[2:3], s[0:1]
	s_and_saveexec_b64 s[2:3], s[0:1]
	s_cbranch_execz .LBB48_4
; %bb.3:
	s_load_dwordx2 s[0:1], s[4:5], 0x10
	v_ashrrev_i32_e32 v1, 31, v0
	v_lshlrev_b64 v[0:1], 1, v[0:1]
	s_waitcnt lgkmcnt(0)
	v_mov_b32_e32 v2, s1
	v_add_co_u32_e32 v0, vcc, s0, v0
	v_addc_co_u32_e32 v1, vcc, v2, v1, vcc
	v_mov_b32_e32 v2, 0
	global_store_short v[0:1], v2, off
.LBB48_4:
	s_endpgm
	.section	.rodata,"a",@progbits
	.p2align	6, 0x0
	.amdhsa_kernel _ZN9rocsparseL12scale_kernelILj256Ei18rocsparse_bfloat16fEEvT0_NS_24const_host_device_scalarIT2_EEPT1_b
		.amdhsa_group_segment_fixed_size 0
		.amdhsa_private_segment_fixed_size 0
		.amdhsa_kernarg_size 28
		.amdhsa_user_sgpr_count 6
		.amdhsa_user_sgpr_private_segment_buffer 1
		.amdhsa_user_sgpr_dispatch_ptr 0
		.amdhsa_user_sgpr_queue_ptr 0
		.amdhsa_user_sgpr_kernarg_segment_ptr 1
		.amdhsa_user_sgpr_dispatch_id 0
		.amdhsa_user_sgpr_flat_scratch_init 0
		.amdhsa_user_sgpr_private_segment_size 0
		.amdhsa_uses_dynamic_stack 0
		.amdhsa_system_sgpr_private_segment_wavefront_offset 0
		.amdhsa_system_sgpr_workgroup_id_x 1
		.amdhsa_system_sgpr_workgroup_id_y 0
		.amdhsa_system_sgpr_workgroup_id_z 0
		.amdhsa_system_sgpr_workgroup_info 0
		.amdhsa_system_vgpr_workitem_id 0
		.amdhsa_next_free_vgpr 3
		.amdhsa_next_free_sgpr 7
		.amdhsa_reserve_vcc 1
		.amdhsa_reserve_flat_scratch 0
		.amdhsa_float_round_mode_32 0
		.amdhsa_float_round_mode_16_64 0
		.amdhsa_float_denorm_mode_32 3
		.amdhsa_float_denorm_mode_16_64 3
		.amdhsa_dx10_clamp 1
		.amdhsa_ieee_mode 1
		.amdhsa_fp16_overflow 0
		.amdhsa_exception_fp_ieee_invalid_op 0
		.amdhsa_exception_fp_denorm_src 0
		.amdhsa_exception_fp_ieee_div_zero 0
		.amdhsa_exception_fp_ieee_overflow 0
		.amdhsa_exception_fp_ieee_underflow 0
		.amdhsa_exception_fp_ieee_inexact 0
		.amdhsa_exception_int_div_zero 0
	.end_amdhsa_kernel
	.section	.text._ZN9rocsparseL12scale_kernelILj256Ei18rocsparse_bfloat16fEEvT0_NS_24const_host_device_scalarIT2_EEPT1_b,"axG",@progbits,_ZN9rocsparseL12scale_kernelILj256Ei18rocsparse_bfloat16fEEvT0_NS_24const_host_device_scalarIT2_EEPT1_b,comdat
.Lfunc_end48:
	.size	_ZN9rocsparseL12scale_kernelILj256Ei18rocsparse_bfloat16fEEvT0_NS_24const_host_device_scalarIT2_EEPT1_b, .Lfunc_end48-_ZN9rocsparseL12scale_kernelILj256Ei18rocsparse_bfloat16fEEvT0_NS_24const_host_device_scalarIT2_EEPT1_b
                                        ; -- End function
	.set _ZN9rocsparseL12scale_kernelILj256Ei18rocsparse_bfloat16fEEvT0_NS_24const_host_device_scalarIT2_EEPT1_b.num_vgpr, 3
	.set _ZN9rocsparseL12scale_kernelILj256Ei18rocsparse_bfloat16fEEvT0_NS_24const_host_device_scalarIT2_EEPT1_b.num_agpr, 0
	.set _ZN9rocsparseL12scale_kernelILj256Ei18rocsparse_bfloat16fEEvT0_NS_24const_host_device_scalarIT2_EEPT1_b.numbered_sgpr, 7
	.set _ZN9rocsparseL12scale_kernelILj256Ei18rocsparse_bfloat16fEEvT0_NS_24const_host_device_scalarIT2_EEPT1_b.num_named_barrier, 0
	.set _ZN9rocsparseL12scale_kernelILj256Ei18rocsparse_bfloat16fEEvT0_NS_24const_host_device_scalarIT2_EEPT1_b.private_seg_size, 0
	.set _ZN9rocsparseL12scale_kernelILj256Ei18rocsparse_bfloat16fEEvT0_NS_24const_host_device_scalarIT2_EEPT1_b.uses_vcc, 1
	.set _ZN9rocsparseL12scale_kernelILj256Ei18rocsparse_bfloat16fEEvT0_NS_24const_host_device_scalarIT2_EEPT1_b.uses_flat_scratch, 0
	.set _ZN9rocsparseL12scale_kernelILj256Ei18rocsparse_bfloat16fEEvT0_NS_24const_host_device_scalarIT2_EEPT1_b.has_dyn_sized_stack, 0
	.set _ZN9rocsparseL12scale_kernelILj256Ei18rocsparse_bfloat16fEEvT0_NS_24const_host_device_scalarIT2_EEPT1_b.has_recursion, 0
	.set _ZN9rocsparseL12scale_kernelILj256Ei18rocsparse_bfloat16fEEvT0_NS_24const_host_device_scalarIT2_EEPT1_b.has_indirect_call, 0
	.section	.AMDGPU.csdata,"",@progbits
; Kernel info:
; codeLenInByte = 156
; TotalNumSgprs: 11
; NumVgprs: 3
; ScratchSize: 0
; MemoryBound: 0
; FloatMode: 240
; IeeeMode: 1
; LDSByteSize: 0 bytes/workgroup (compile time only)
; SGPRBlocks: 1
; VGPRBlocks: 0
; NumSGPRsForWavesPerEU: 11
; NumVGPRsForWavesPerEU: 3
; Occupancy: 10
; WaveLimiterHint : 0
; COMPUTE_PGM_RSRC2:SCRATCH_EN: 0
; COMPUTE_PGM_RSRC2:USER_SGPR: 6
; COMPUTE_PGM_RSRC2:TRAP_HANDLER: 0
; COMPUTE_PGM_RSRC2:TGID_X_EN: 1
; COMPUTE_PGM_RSRC2:TGID_Y_EN: 0
; COMPUTE_PGM_RSRC2:TGID_Z_EN: 0
; COMPUTE_PGM_RSRC2:TIDIG_COMP_CNT: 0
	.section	.text._ZN9rocsparseL12scale_kernelILj256EiDF16_fEEvT0_NS_24const_host_device_scalarIT2_EEPT1_b,"axG",@progbits,_ZN9rocsparseL12scale_kernelILj256EiDF16_fEEvT0_NS_24const_host_device_scalarIT2_EEPT1_b,comdat
	.globl	_ZN9rocsparseL12scale_kernelILj256EiDF16_fEEvT0_NS_24const_host_device_scalarIT2_EEPT1_b ; -- Begin function _ZN9rocsparseL12scale_kernelILj256EiDF16_fEEvT0_NS_24const_host_device_scalarIT2_EEPT1_b
	.p2align	8
	.type	_ZN9rocsparseL12scale_kernelILj256EiDF16_fEEvT0_NS_24const_host_device_scalarIT2_EEPT1_b,@function
_ZN9rocsparseL12scale_kernelILj256EiDF16_fEEvT0_NS_24const_host_device_scalarIT2_EEPT1_b: ; @_ZN9rocsparseL12scale_kernelILj256EiDF16_fEEvT0_NS_24const_host_device_scalarIT2_EEPT1_b
; %bb.0:
	s_load_dword s2, s[4:5], 0x18
	s_load_dwordx2 s[0:1], s[4:5], 0x8
	s_waitcnt lgkmcnt(0)
	s_bitcmp1_b32 s2, 0
	s_cselect_b64 s[2:3], -1, 0
	s_and_b64 vcc, exec, s[2:3]
	s_cbranch_vccnz .LBB49_2
; %bb.1:
	s_load_dword s0, s[0:1], 0x0
.LBB49_2:
	s_waitcnt lgkmcnt(0)
	v_cmp_eq_f32_e64 s[2:3], s0, 1.0
	s_and_b64 vcc, exec, s[2:3]
	s_cbranch_vccnz .LBB49_8
; %bb.3:
	s_load_dword s1, s[4:5], 0x0
	v_lshl_or_b32 v0, s6, 8, v0
	s_waitcnt lgkmcnt(0)
	v_cmp_gt_i32_e32 vcc, s1, v0
	s_and_saveexec_b64 s[2:3], vcc
	s_cbranch_execz .LBB49_8
; %bb.4:
	s_load_dwordx2 s[2:3], s[4:5], 0x10
	v_ashrrev_i32_e32 v1, 31, v0
	v_lshlrev_b64 v[0:1], 1, v[0:1]
	v_cmp_eq_f32_e64 s[4:5], s0, 0
	s_waitcnt lgkmcnt(0)
	v_mov_b32_e32 v2, s3
	v_add_co_u32_e32 v0, vcc, s2, v0
	v_addc_co_u32_e32 v1, vcc, v2, v1, vcc
	s_and_b64 vcc, exec, s[4:5]
	s_cbranch_vccnz .LBB49_6
; %bb.5:
	global_load_ushort v2, v[0:1], off
	s_waitcnt vmcnt(0)
	v_fma_mixlo_f16 v2, s0, v2, 0 op_sel_hi:[0,1,0]
	s_branch .LBB49_7
.LBB49_6:
	v_mov_b32_e32 v2, 0
.LBB49_7:
	global_store_short v[0:1], v2, off
.LBB49_8:
	s_endpgm
	.section	.rodata,"a",@progbits
	.p2align	6, 0x0
	.amdhsa_kernel _ZN9rocsparseL12scale_kernelILj256EiDF16_fEEvT0_NS_24const_host_device_scalarIT2_EEPT1_b
		.amdhsa_group_segment_fixed_size 0
		.amdhsa_private_segment_fixed_size 0
		.amdhsa_kernarg_size 28
		.amdhsa_user_sgpr_count 6
		.amdhsa_user_sgpr_private_segment_buffer 1
		.amdhsa_user_sgpr_dispatch_ptr 0
		.amdhsa_user_sgpr_queue_ptr 0
		.amdhsa_user_sgpr_kernarg_segment_ptr 1
		.amdhsa_user_sgpr_dispatch_id 0
		.amdhsa_user_sgpr_flat_scratch_init 0
		.amdhsa_user_sgpr_private_segment_size 0
		.amdhsa_uses_dynamic_stack 0
		.amdhsa_system_sgpr_private_segment_wavefront_offset 0
		.amdhsa_system_sgpr_workgroup_id_x 1
		.amdhsa_system_sgpr_workgroup_id_y 0
		.amdhsa_system_sgpr_workgroup_id_z 0
		.amdhsa_system_sgpr_workgroup_info 0
		.amdhsa_system_vgpr_workitem_id 0
		.amdhsa_next_free_vgpr 3
		.amdhsa_next_free_sgpr 7
		.amdhsa_reserve_vcc 1
		.amdhsa_reserve_flat_scratch 0
		.amdhsa_float_round_mode_32 0
		.amdhsa_float_round_mode_16_64 0
		.amdhsa_float_denorm_mode_32 3
		.amdhsa_float_denorm_mode_16_64 3
		.amdhsa_dx10_clamp 1
		.amdhsa_ieee_mode 1
		.amdhsa_fp16_overflow 0
		.amdhsa_exception_fp_ieee_invalid_op 0
		.amdhsa_exception_fp_denorm_src 0
		.amdhsa_exception_fp_ieee_div_zero 0
		.amdhsa_exception_fp_ieee_overflow 0
		.amdhsa_exception_fp_ieee_underflow 0
		.amdhsa_exception_fp_ieee_inexact 0
		.amdhsa_exception_int_div_zero 0
	.end_amdhsa_kernel
	.section	.text._ZN9rocsparseL12scale_kernelILj256EiDF16_fEEvT0_NS_24const_host_device_scalarIT2_EEPT1_b,"axG",@progbits,_ZN9rocsparseL12scale_kernelILj256EiDF16_fEEvT0_NS_24const_host_device_scalarIT2_EEPT1_b,comdat
.Lfunc_end49:
	.size	_ZN9rocsparseL12scale_kernelILj256EiDF16_fEEvT0_NS_24const_host_device_scalarIT2_EEPT1_b, .Lfunc_end49-_ZN9rocsparseL12scale_kernelILj256EiDF16_fEEvT0_NS_24const_host_device_scalarIT2_EEPT1_b
                                        ; -- End function
	.set _ZN9rocsparseL12scale_kernelILj256EiDF16_fEEvT0_NS_24const_host_device_scalarIT2_EEPT1_b.num_vgpr, 3
	.set _ZN9rocsparseL12scale_kernelILj256EiDF16_fEEvT0_NS_24const_host_device_scalarIT2_EEPT1_b.num_agpr, 0
	.set _ZN9rocsparseL12scale_kernelILj256EiDF16_fEEvT0_NS_24const_host_device_scalarIT2_EEPT1_b.numbered_sgpr, 7
	.set _ZN9rocsparseL12scale_kernelILj256EiDF16_fEEvT0_NS_24const_host_device_scalarIT2_EEPT1_b.num_named_barrier, 0
	.set _ZN9rocsparseL12scale_kernelILj256EiDF16_fEEvT0_NS_24const_host_device_scalarIT2_EEPT1_b.private_seg_size, 0
	.set _ZN9rocsparseL12scale_kernelILj256EiDF16_fEEvT0_NS_24const_host_device_scalarIT2_EEPT1_b.uses_vcc, 1
	.set _ZN9rocsparseL12scale_kernelILj256EiDF16_fEEvT0_NS_24const_host_device_scalarIT2_EEPT1_b.uses_flat_scratch, 0
	.set _ZN9rocsparseL12scale_kernelILj256EiDF16_fEEvT0_NS_24const_host_device_scalarIT2_EEPT1_b.has_dyn_sized_stack, 0
	.set _ZN9rocsparseL12scale_kernelILj256EiDF16_fEEvT0_NS_24const_host_device_scalarIT2_EEPT1_b.has_recursion, 0
	.set _ZN9rocsparseL12scale_kernelILj256EiDF16_fEEvT0_NS_24const_host_device_scalarIT2_EEPT1_b.has_indirect_call, 0
	.section	.AMDGPU.csdata,"",@progbits
; Kernel info:
; codeLenInByte = 188
; TotalNumSgprs: 11
; NumVgprs: 3
; ScratchSize: 0
; MemoryBound: 0
; FloatMode: 240
; IeeeMode: 1
; LDSByteSize: 0 bytes/workgroup (compile time only)
; SGPRBlocks: 1
; VGPRBlocks: 0
; NumSGPRsForWavesPerEU: 11
; NumVGPRsForWavesPerEU: 3
; Occupancy: 10
; WaveLimiterHint : 0
; COMPUTE_PGM_RSRC2:SCRATCH_EN: 0
; COMPUTE_PGM_RSRC2:USER_SGPR: 6
; COMPUTE_PGM_RSRC2:TRAP_HANDLER: 0
; COMPUTE_PGM_RSRC2:TGID_X_EN: 1
; COMPUTE_PGM_RSRC2:TGID_Y_EN: 0
; COMPUTE_PGM_RSRC2:TGID_Z_EN: 0
; COMPUTE_PGM_RSRC2:TIDIG_COMP_CNT: 0
	.section	.text._ZN9rocsparseL12scale_kernelILj256EiiiEEvT0_NS_24const_host_device_scalarIT2_EEPT1_b,"axG",@progbits,_ZN9rocsparseL12scale_kernelILj256EiiiEEvT0_NS_24const_host_device_scalarIT2_EEPT1_b,comdat
	.globl	_ZN9rocsparseL12scale_kernelILj256EiiiEEvT0_NS_24const_host_device_scalarIT2_EEPT1_b ; -- Begin function _ZN9rocsparseL12scale_kernelILj256EiiiEEvT0_NS_24const_host_device_scalarIT2_EEPT1_b
	.p2align	8
	.type	_ZN9rocsparseL12scale_kernelILj256EiiiEEvT0_NS_24const_host_device_scalarIT2_EEPT1_b,@function
_ZN9rocsparseL12scale_kernelILj256EiiiEEvT0_NS_24const_host_device_scalarIT2_EEPT1_b: ; @_ZN9rocsparseL12scale_kernelILj256EiiiEEvT0_NS_24const_host_device_scalarIT2_EEPT1_b
; %bb.0:
	s_load_dword s2, s[4:5], 0x18
	s_load_dwordx2 s[0:1], s[4:5], 0x8
	s_waitcnt lgkmcnt(0)
	s_bitcmp0_b32 s2, 0
	s_cbranch_scc0 .LBB50_2
; %bb.1:
	s_load_dword s1, s[0:1], 0x0
	s_cbranch_execz .LBB50_3
	s_branch .LBB50_4
.LBB50_2:
                                        ; implicit-def: $sgpr1
.LBB50_3:
	s_waitcnt lgkmcnt(0)
	s_mov_b32 s1, s0
.LBB50_4:
	s_waitcnt lgkmcnt(0)
	s_cmp_eq_u32 s1, 1
	s_cbranch_scc1 .LBB50_10
; %bb.5:
	s_load_dword s0, s[4:5], 0x0
	v_lshl_or_b32 v0, s6, 8, v0
	s_waitcnt lgkmcnt(0)
	v_cmp_gt_i32_e32 vcc, s0, v0
	s_and_saveexec_b64 s[2:3], vcc
	s_cbranch_execz .LBB50_10
; %bb.6:
	s_load_dwordx2 s[2:3], s[4:5], 0x10
	v_ashrrev_i32_e32 v1, 31, v0
	v_lshlrev_b64 v[0:1], 2, v[0:1]
	s_cmp_eq_u32 s1, 0
	s_waitcnt lgkmcnt(0)
	v_mov_b32_e32 v2, s3
	v_add_co_u32_e32 v0, vcc, s2, v0
	v_addc_co_u32_e32 v1, vcc, v2, v1, vcc
	s_cbranch_scc1 .LBB50_8
; %bb.7:
	global_load_dword v2, v[0:1], off
	s_waitcnt vmcnt(0)
	v_mul_lo_u32 v2, v2, s1
	s_branch .LBB50_9
.LBB50_8:
	v_mov_b32_e32 v2, 0
.LBB50_9:
	global_store_dword v[0:1], v2, off
.LBB50_10:
	s_endpgm
	.section	.rodata,"a",@progbits
	.p2align	6, 0x0
	.amdhsa_kernel _ZN9rocsparseL12scale_kernelILj256EiiiEEvT0_NS_24const_host_device_scalarIT2_EEPT1_b
		.amdhsa_group_segment_fixed_size 0
		.amdhsa_private_segment_fixed_size 0
		.amdhsa_kernarg_size 28
		.amdhsa_user_sgpr_count 6
		.amdhsa_user_sgpr_private_segment_buffer 1
		.amdhsa_user_sgpr_dispatch_ptr 0
		.amdhsa_user_sgpr_queue_ptr 0
		.amdhsa_user_sgpr_kernarg_segment_ptr 1
		.amdhsa_user_sgpr_dispatch_id 0
		.amdhsa_user_sgpr_flat_scratch_init 0
		.amdhsa_user_sgpr_private_segment_size 0
		.amdhsa_uses_dynamic_stack 0
		.amdhsa_system_sgpr_private_segment_wavefront_offset 0
		.amdhsa_system_sgpr_workgroup_id_x 1
		.amdhsa_system_sgpr_workgroup_id_y 0
		.amdhsa_system_sgpr_workgroup_id_z 0
		.amdhsa_system_sgpr_workgroup_info 0
		.amdhsa_system_vgpr_workitem_id 0
		.amdhsa_next_free_vgpr 3
		.amdhsa_next_free_sgpr 7
		.amdhsa_reserve_vcc 1
		.amdhsa_reserve_flat_scratch 0
		.amdhsa_float_round_mode_32 0
		.amdhsa_float_round_mode_16_64 0
		.amdhsa_float_denorm_mode_32 3
		.amdhsa_float_denorm_mode_16_64 3
		.amdhsa_dx10_clamp 1
		.amdhsa_ieee_mode 1
		.amdhsa_fp16_overflow 0
		.amdhsa_exception_fp_ieee_invalid_op 0
		.amdhsa_exception_fp_denorm_src 0
		.amdhsa_exception_fp_ieee_div_zero 0
		.amdhsa_exception_fp_ieee_overflow 0
		.amdhsa_exception_fp_ieee_underflow 0
		.amdhsa_exception_fp_ieee_inexact 0
		.amdhsa_exception_int_div_zero 0
	.end_amdhsa_kernel
	.section	.text._ZN9rocsparseL12scale_kernelILj256EiiiEEvT0_NS_24const_host_device_scalarIT2_EEPT1_b,"axG",@progbits,_ZN9rocsparseL12scale_kernelILj256EiiiEEvT0_NS_24const_host_device_scalarIT2_EEPT1_b,comdat
.Lfunc_end50:
	.size	_ZN9rocsparseL12scale_kernelILj256EiiiEEvT0_NS_24const_host_device_scalarIT2_EEPT1_b, .Lfunc_end50-_ZN9rocsparseL12scale_kernelILj256EiiiEEvT0_NS_24const_host_device_scalarIT2_EEPT1_b
                                        ; -- End function
	.set _ZN9rocsparseL12scale_kernelILj256EiiiEEvT0_NS_24const_host_device_scalarIT2_EEPT1_b.num_vgpr, 3
	.set _ZN9rocsparseL12scale_kernelILj256EiiiEEvT0_NS_24const_host_device_scalarIT2_EEPT1_b.num_agpr, 0
	.set _ZN9rocsparseL12scale_kernelILj256EiiiEEvT0_NS_24const_host_device_scalarIT2_EEPT1_b.numbered_sgpr, 7
	.set _ZN9rocsparseL12scale_kernelILj256EiiiEEvT0_NS_24const_host_device_scalarIT2_EEPT1_b.num_named_barrier, 0
	.set _ZN9rocsparseL12scale_kernelILj256EiiiEEvT0_NS_24const_host_device_scalarIT2_EEPT1_b.private_seg_size, 0
	.set _ZN9rocsparseL12scale_kernelILj256EiiiEEvT0_NS_24const_host_device_scalarIT2_EEPT1_b.uses_vcc, 1
	.set _ZN9rocsparseL12scale_kernelILj256EiiiEEvT0_NS_24const_host_device_scalarIT2_EEPT1_b.uses_flat_scratch, 0
	.set _ZN9rocsparseL12scale_kernelILj256EiiiEEvT0_NS_24const_host_device_scalarIT2_EEPT1_b.has_dyn_sized_stack, 0
	.set _ZN9rocsparseL12scale_kernelILj256EiiiEEvT0_NS_24const_host_device_scalarIT2_EEPT1_b.has_recursion, 0
	.set _ZN9rocsparseL12scale_kernelILj256EiiiEEvT0_NS_24const_host_device_scalarIT2_EEPT1_b.has_indirect_call, 0
	.section	.AMDGPU.csdata,"",@progbits
; Kernel info:
; codeLenInByte = 180
; TotalNumSgprs: 11
; NumVgprs: 3
; ScratchSize: 0
; MemoryBound: 0
; FloatMode: 240
; IeeeMode: 1
; LDSByteSize: 0 bytes/workgroup (compile time only)
; SGPRBlocks: 1
; VGPRBlocks: 0
; NumSGPRsForWavesPerEU: 11
; NumVGPRsForWavesPerEU: 3
; Occupancy: 10
; WaveLimiterHint : 0
; COMPUTE_PGM_RSRC2:SCRATCH_EN: 0
; COMPUTE_PGM_RSRC2:USER_SGPR: 6
; COMPUTE_PGM_RSRC2:TRAP_HANDLER: 0
; COMPUTE_PGM_RSRC2:TGID_X_EN: 1
; COMPUTE_PGM_RSRC2:TGID_Y_EN: 0
; COMPUTE_PGM_RSRC2:TGID_Z_EN: 0
; COMPUTE_PGM_RSRC2:TIDIG_COMP_CNT: 0
	.section	.text._ZN9rocsparseL12scale_kernelILj256EiffEEvT0_NS_24const_host_device_scalarIT2_EEPT1_b,"axG",@progbits,_ZN9rocsparseL12scale_kernelILj256EiffEEvT0_NS_24const_host_device_scalarIT2_EEPT1_b,comdat
	.globl	_ZN9rocsparseL12scale_kernelILj256EiffEEvT0_NS_24const_host_device_scalarIT2_EEPT1_b ; -- Begin function _ZN9rocsparseL12scale_kernelILj256EiffEEvT0_NS_24const_host_device_scalarIT2_EEPT1_b
	.p2align	8
	.type	_ZN9rocsparseL12scale_kernelILj256EiffEEvT0_NS_24const_host_device_scalarIT2_EEPT1_b,@function
_ZN9rocsparseL12scale_kernelILj256EiffEEvT0_NS_24const_host_device_scalarIT2_EEPT1_b: ; @_ZN9rocsparseL12scale_kernelILj256EiffEEvT0_NS_24const_host_device_scalarIT2_EEPT1_b
; %bb.0:
	s_load_dword s2, s[4:5], 0x18
	s_load_dwordx2 s[0:1], s[4:5], 0x8
	s_waitcnt lgkmcnt(0)
	s_bitcmp1_b32 s2, 0
	s_cselect_b64 s[2:3], -1, 0
	s_and_b64 vcc, exec, s[2:3]
	s_cbranch_vccnz .LBB51_2
; %bb.1:
	s_load_dword s0, s[0:1], 0x0
.LBB51_2:
	s_waitcnt lgkmcnt(0)
	v_cmp_eq_f32_e64 s[2:3], s0, 1.0
	s_and_b64 vcc, exec, s[2:3]
	s_cbranch_vccnz .LBB51_7
; %bb.3:
	s_load_dword s1, s[4:5], 0x0
	v_lshl_or_b32 v0, s6, 8, v0
	s_waitcnt lgkmcnt(0)
	v_cmp_gt_i32_e32 vcc, s1, v0
	s_and_saveexec_b64 s[2:3], vcc
	s_cbranch_execz .LBB51_7
; %bb.4:
	s_load_dwordx2 s[2:3], s[4:5], 0x10
	v_ashrrev_i32_e32 v1, 31, v0
	v_lshlrev_b64 v[0:1], 2, v[0:1]
	v_cmp_eq_f32_e64 s[4:5], s0, 0
	v_mov_b32_e32 v2, 0
	s_waitcnt lgkmcnt(0)
	v_mov_b32_e32 v3, s3
	v_add_co_u32_e32 v0, vcc, s2, v0
	v_addc_co_u32_e32 v1, vcc, v3, v1, vcc
	s_and_b64 vcc, exec, s[4:5]
	s_cbranch_vccnz .LBB51_6
; %bb.5:
	global_load_dword v2, v[0:1], off
	s_waitcnt vmcnt(0)
	v_mul_f32_e32 v2, s0, v2
.LBB51_6:
	global_store_dword v[0:1], v2, off
.LBB51_7:
	s_endpgm
	.section	.rodata,"a",@progbits
	.p2align	6, 0x0
	.amdhsa_kernel _ZN9rocsparseL12scale_kernelILj256EiffEEvT0_NS_24const_host_device_scalarIT2_EEPT1_b
		.amdhsa_group_segment_fixed_size 0
		.amdhsa_private_segment_fixed_size 0
		.amdhsa_kernarg_size 28
		.amdhsa_user_sgpr_count 6
		.amdhsa_user_sgpr_private_segment_buffer 1
		.amdhsa_user_sgpr_dispatch_ptr 0
		.amdhsa_user_sgpr_queue_ptr 0
		.amdhsa_user_sgpr_kernarg_segment_ptr 1
		.amdhsa_user_sgpr_dispatch_id 0
		.amdhsa_user_sgpr_flat_scratch_init 0
		.amdhsa_user_sgpr_private_segment_size 0
		.amdhsa_uses_dynamic_stack 0
		.amdhsa_system_sgpr_private_segment_wavefront_offset 0
		.amdhsa_system_sgpr_workgroup_id_x 1
		.amdhsa_system_sgpr_workgroup_id_y 0
		.amdhsa_system_sgpr_workgroup_id_z 0
		.amdhsa_system_sgpr_workgroup_info 0
		.amdhsa_system_vgpr_workitem_id 0
		.amdhsa_next_free_vgpr 4
		.amdhsa_next_free_sgpr 7
		.amdhsa_reserve_vcc 1
		.amdhsa_reserve_flat_scratch 0
		.amdhsa_float_round_mode_32 0
		.amdhsa_float_round_mode_16_64 0
		.amdhsa_float_denorm_mode_32 3
		.amdhsa_float_denorm_mode_16_64 3
		.amdhsa_dx10_clamp 1
		.amdhsa_ieee_mode 1
		.amdhsa_fp16_overflow 0
		.amdhsa_exception_fp_ieee_invalid_op 0
		.amdhsa_exception_fp_denorm_src 0
		.amdhsa_exception_fp_ieee_div_zero 0
		.amdhsa_exception_fp_ieee_overflow 0
		.amdhsa_exception_fp_ieee_underflow 0
		.amdhsa_exception_fp_ieee_inexact 0
		.amdhsa_exception_int_div_zero 0
	.end_amdhsa_kernel
	.section	.text._ZN9rocsparseL12scale_kernelILj256EiffEEvT0_NS_24const_host_device_scalarIT2_EEPT1_b,"axG",@progbits,_ZN9rocsparseL12scale_kernelILj256EiffEEvT0_NS_24const_host_device_scalarIT2_EEPT1_b,comdat
.Lfunc_end51:
	.size	_ZN9rocsparseL12scale_kernelILj256EiffEEvT0_NS_24const_host_device_scalarIT2_EEPT1_b, .Lfunc_end51-_ZN9rocsparseL12scale_kernelILj256EiffEEvT0_NS_24const_host_device_scalarIT2_EEPT1_b
                                        ; -- End function
	.set _ZN9rocsparseL12scale_kernelILj256EiffEEvT0_NS_24const_host_device_scalarIT2_EEPT1_b.num_vgpr, 4
	.set _ZN9rocsparseL12scale_kernelILj256EiffEEvT0_NS_24const_host_device_scalarIT2_EEPT1_b.num_agpr, 0
	.set _ZN9rocsparseL12scale_kernelILj256EiffEEvT0_NS_24const_host_device_scalarIT2_EEPT1_b.numbered_sgpr, 7
	.set _ZN9rocsparseL12scale_kernelILj256EiffEEvT0_NS_24const_host_device_scalarIT2_EEPT1_b.num_named_barrier, 0
	.set _ZN9rocsparseL12scale_kernelILj256EiffEEvT0_NS_24const_host_device_scalarIT2_EEPT1_b.private_seg_size, 0
	.set _ZN9rocsparseL12scale_kernelILj256EiffEEvT0_NS_24const_host_device_scalarIT2_EEPT1_b.uses_vcc, 1
	.set _ZN9rocsparseL12scale_kernelILj256EiffEEvT0_NS_24const_host_device_scalarIT2_EEPT1_b.uses_flat_scratch, 0
	.set _ZN9rocsparseL12scale_kernelILj256EiffEEvT0_NS_24const_host_device_scalarIT2_EEPT1_b.has_dyn_sized_stack, 0
	.set _ZN9rocsparseL12scale_kernelILj256EiffEEvT0_NS_24const_host_device_scalarIT2_EEPT1_b.has_recursion, 0
	.set _ZN9rocsparseL12scale_kernelILj256EiffEEvT0_NS_24const_host_device_scalarIT2_EEPT1_b.has_indirect_call, 0
	.section	.AMDGPU.csdata,"",@progbits
; Kernel info:
; codeLenInByte = 180
; TotalNumSgprs: 11
; NumVgprs: 4
; ScratchSize: 0
; MemoryBound: 0
; FloatMode: 240
; IeeeMode: 1
; LDSByteSize: 0 bytes/workgroup (compile time only)
; SGPRBlocks: 1
; VGPRBlocks: 0
; NumSGPRsForWavesPerEU: 11
; NumVGPRsForWavesPerEU: 4
; Occupancy: 10
; WaveLimiterHint : 0
; COMPUTE_PGM_RSRC2:SCRATCH_EN: 0
; COMPUTE_PGM_RSRC2:USER_SGPR: 6
; COMPUTE_PGM_RSRC2:TRAP_HANDLER: 0
; COMPUTE_PGM_RSRC2:TGID_X_EN: 1
; COMPUTE_PGM_RSRC2:TGID_Y_EN: 0
; COMPUTE_PGM_RSRC2:TGID_Z_EN: 0
; COMPUTE_PGM_RSRC2:TIDIG_COMP_CNT: 0
	.section	.text._ZN9rocsparseL12scale_kernelILj256EiddEEvT0_NS_24const_host_device_scalarIT2_EEPT1_b,"axG",@progbits,_ZN9rocsparseL12scale_kernelILj256EiddEEvT0_NS_24const_host_device_scalarIT2_EEPT1_b,comdat
	.globl	_ZN9rocsparseL12scale_kernelILj256EiddEEvT0_NS_24const_host_device_scalarIT2_EEPT1_b ; -- Begin function _ZN9rocsparseL12scale_kernelILj256EiddEEvT0_NS_24const_host_device_scalarIT2_EEPT1_b
	.p2align	8
	.type	_ZN9rocsparseL12scale_kernelILj256EiddEEvT0_NS_24const_host_device_scalarIT2_EEPT1_b,@function
_ZN9rocsparseL12scale_kernelILj256EiddEEvT0_NS_24const_host_device_scalarIT2_EEPT1_b: ; @_ZN9rocsparseL12scale_kernelILj256EiddEEvT0_NS_24const_host_device_scalarIT2_EEPT1_b
; %bb.0:
	s_load_dword s2, s[4:5], 0x18
	s_load_dwordx2 s[0:1], s[4:5], 0x8
	s_waitcnt lgkmcnt(0)
	s_bitcmp1_b32 s2, 0
	s_cselect_b64 s[2:3], -1, 0
	v_mov_b32_e32 v2, s1
	s_and_b64 vcc, exec, s[2:3]
	v_mov_b32_e32 v1, s0
	s_cbranch_vccnz .LBB52_2
; %bb.1:
	v_mov_b32_e32 v2, s1
	v_mov_b32_e32 v1, s0
	flat_load_dwordx2 v[1:2], v[1:2]
.LBB52_2:
	s_waitcnt vmcnt(0) lgkmcnt(0)
	v_cmp_neq_f64_e32 vcc, 1.0, v[1:2]
	s_and_saveexec_b64 s[0:1], vcc
	s_cbranch_execz .LBB52_7
; %bb.3:
	s_load_dword s0, s[4:5], 0x0
	v_lshl_or_b32 v5, s6, 8, v0
	s_waitcnt lgkmcnt(0)
	v_cmp_gt_i32_e32 vcc, s0, v5
	s_and_b64 exec, exec, vcc
	s_cbranch_execz .LBB52_7
; %bb.4:
	v_cmp_neq_f64_e32 vcc, 0, v[1:2]
	s_load_dwordx2 s[0:1], s[4:5], 0x10
	v_ashrrev_i32_e32 v6, 31, v5
	v_lshlrev_b64 v[5:6], 3, v[5:6]
	v_mov_b32_e32 v3, 0
	v_mov_b32_e32 v4, 0
	s_waitcnt lgkmcnt(0)
	v_mov_b32_e32 v0, s1
	v_add_co_u32_e64 v5, s[0:1], s0, v5
	v_addc_co_u32_e64 v6, s[0:1], v0, v6, s[0:1]
	s_and_saveexec_b64 s[0:1], vcc
	s_cbranch_execz .LBB52_6
; %bb.5:
	global_load_dwordx2 v[3:4], v[5:6], off
	s_waitcnt vmcnt(0)
	v_mul_f64 v[3:4], v[1:2], v[3:4]
.LBB52_6:
	s_or_b64 exec, exec, s[0:1]
	global_store_dwordx2 v[5:6], v[3:4], off
.LBB52_7:
	s_endpgm
	.section	.rodata,"a",@progbits
	.p2align	6, 0x0
	.amdhsa_kernel _ZN9rocsparseL12scale_kernelILj256EiddEEvT0_NS_24const_host_device_scalarIT2_EEPT1_b
		.amdhsa_group_segment_fixed_size 0
		.amdhsa_private_segment_fixed_size 0
		.amdhsa_kernarg_size 28
		.amdhsa_user_sgpr_count 6
		.amdhsa_user_sgpr_private_segment_buffer 1
		.amdhsa_user_sgpr_dispatch_ptr 0
		.amdhsa_user_sgpr_queue_ptr 0
		.amdhsa_user_sgpr_kernarg_segment_ptr 1
		.amdhsa_user_sgpr_dispatch_id 0
		.amdhsa_user_sgpr_flat_scratch_init 0
		.amdhsa_user_sgpr_private_segment_size 0
		.amdhsa_uses_dynamic_stack 0
		.amdhsa_system_sgpr_private_segment_wavefront_offset 0
		.amdhsa_system_sgpr_workgroup_id_x 1
		.amdhsa_system_sgpr_workgroup_id_y 0
		.amdhsa_system_sgpr_workgroup_id_z 0
		.amdhsa_system_sgpr_workgroup_info 0
		.amdhsa_system_vgpr_workitem_id 0
		.amdhsa_next_free_vgpr 7
		.amdhsa_next_free_sgpr 7
		.amdhsa_reserve_vcc 1
		.amdhsa_reserve_flat_scratch 0
		.amdhsa_float_round_mode_32 0
		.amdhsa_float_round_mode_16_64 0
		.amdhsa_float_denorm_mode_32 3
		.amdhsa_float_denorm_mode_16_64 3
		.amdhsa_dx10_clamp 1
		.amdhsa_ieee_mode 1
		.amdhsa_fp16_overflow 0
		.amdhsa_exception_fp_ieee_invalid_op 0
		.amdhsa_exception_fp_denorm_src 0
		.amdhsa_exception_fp_ieee_div_zero 0
		.amdhsa_exception_fp_ieee_overflow 0
		.amdhsa_exception_fp_ieee_underflow 0
		.amdhsa_exception_fp_ieee_inexact 0
		.amdhsa_exception_int_div_zero 0
	.end_amdhsa_kernel
	.section	.text._ZN9rocsparseL12scale_kernelILj256EiddEEvT0_NS_24const_host_device_scalarIT2_EEPT1_b,"axG",@progbits,_ZN9rocsparseL12scale_kernelILj256EiddEEvT0_NS_24const_host_device_scalarIT2_EEPT1_b,comdat
.Lfunc_end52:
	.size	_ZN9rocsparseL12scale_kernelILj256EiddEEvT0_NS_24const_host_device_scalarIT2_EEPT1_b, .Lfunc_end52-_ZN9rocsparseL12scale_kernelILj256EiddEEvT0_NS_24const_host_device_scalarIT2_EEPT1_b
                                        ; -- End function
	.set _ZN9rocsparseL12scale_kernelILj256EiddEEvT0_NS_24const_host_device_scalarIT2_EEPT1_b.num_vgpr, 7
	.set _ZN9rocsparseL12scale_kernelILj256EiddEEvT0_NS_24const_host_device_scalarIT2_EEPT1_b.num_agpr, 0
	.set _ZN9rocsparseL12scale_kernelILj256EiddEEvT0_NS_24const_host_device_scalarIT2_EEPT1_b.numbered_sgpr, 7
	.set _ZN9rocsparseL12scale_kernelILj256EiddEEvT0_NS_24const_host_device_scalarIT2_EEPT1_b.num_named_barrier, 0
	.set _ZN9rocsparseL12scale_kernelILj256EiddEEvT0_NS_24const_host_device_scalarIT2_EEPT1_b.private_seg_size, 0
	.set _ZN9rocsparseL12scale_kernelILj256EiddEEvT0_NS_24const_host_device_scalarIT2_EEPT1_b.uses_vcc, 1
	.set _ZN9rocsparseL12scale_kernelILj256EiddEEvT0_NS_24const_host_device_scalarIT2_EEPT1_b.uses_flat_scratch, 0
	.set _ZN9rocsparseL12scale_kernelILj256EiddEEvT0_NS_24const_host_device_scalarIT2_EEPT1_b.has_dyn_sized_stack, 0
	.set _ZN9rocsparseL12scale_kernelILj256EiddEEvT0_NS_24const_host_device_scalarIT2_EEPT1_b.has_recursion, 0
	.set _ZN9rocsparseL12scale_kernelILj256EiddEEvT0_NS_24const_host_device_scalarIT2_EEPT1_b.has_indirect_call, 0
	.section	.AMDGPU.csdata,"",@progbits
; Kernel info:
; codeLenInByte = 208
; TotalNumSgprs: 11
; NumVgprs: 7
; ScratchSize: 0
; MemoryBound: 1
; FloatMode: 240
; IeeeMode: 1
; LDSByteSize: 0 bytes/workgroup (compile time only)
; SGPRBlocks: 1
; VGPRBlocks: 1
; NumSGPRsForWavesPerEU: 11
; NumVGPRsForWavesPerEU: 7
; Occupancy: 10
; WaveLimiterHint : 0
; COMPUTE_PGM_RSRC2:SCRATCH_EN: 0
; COMPUTE_PGM_RSRC2:USER_SGPR: 6
; COMPUTE_PGM_RSRC2:TRAP_HANDLER: 0
; COMPUTE_PGM_RSRC2:TGID_X_EN: 1
; COMPUTE_PGM_RSRC2:TGID_Y_EN: 0
; COMPUTE_PGM_RSRC2:TGID_Z_EN: 0
; COMPUTE_PGM_RSRC2:TIDIG_COMP_CNT: 0
	.section	.text._ZN9rocsparseL12scale_kernelILj256Ei21rocsparse_complex_numIfES2_EEvT0_NS_24const_host_device_scalarIT2_EEPT1_b,"axG",@progbits,_ZN9rocsparseL12scale_kernelILj256Ei21rocsparse_complex_numIfES2_EEvT0_NS_24const_host_device_scalarIT2_EEPT1_b,comdat
	.globl	_ZN9rocsparseL12scale_kernelILj256Ei21rocsparse_complex_numIfES2_EEvT0_NS_24const_host_device_scalarIT2_EEPT1_b ; -- Begin function _ZN9rocsparseL12scale_kernelILj256Ei21rocsparse_complex_numIfES2_EEvT0_NS_24const_host_device_scalarIT2_EEPT1_b
	.p2align	8
	.type	_ZN9rocsparseL12scale_kernelILj256Ei21rocsparse_complex_numIfES2_EEvT0_NS_24const_host_device_scalarIT2_EEPT1_b,@function
_ZN9rocsparseL12scale_kernelILj256Ei21rocsparse_complex_numIfES2_EEvT0_NS_24const_host_device_scalarIT2_EEPT1_b: ; @_ZN9rocsparseL12scale_kernelILj256Ei21rocsparse_complex_numIfES2_EEvT0_NS_24const_host_device_scalarIT2_EEPT1_b
; %bb.0:
	s_load_dword s2, s[4:5], 0x18
	s_load_dwordx2 s[0:1], s[4:5], 0x8
	s_add_u32 s3, s4, 8
	s_addc_u32 s7, s5, 0
	s_waitcnt lgkmcnt(0)
	s_bitcmp1_b32 s2, 0
	s_cselect_b32 s1, s7, s1
	s_cselect_b32 s0, s3, s0
	v_mov_b32_e32 v1, s0
	v_mov_b32_e32 v2, s1
	flat_load_dwordx2 v[1:2], v[1:2]
	s_waitcnt vmcnt(0) lgkmcnt(0)
	v_cmp_neq_f32_e32 vcc, 1.0, v1
	v_cmp_neq_f32_e64 s[0:1], 0, v2
	s_or_b64 s[0:1], vcc, s[0:1]
	s_and_saveexec_b64 s[2:3], s[0:1]
	s_cbranch_execz .LBB53_6
; %bb.1:
	s_load_dword s0, s[4:5], 0x0
	v_lshl_or_b32 v3, s6, 8, v0
	s_waitcnt lgkmcnt(0)
	v_cmp_gt_i32_e32 vcc, s0, v3
	s_and_b64 exec, exec, vcc
	s_cbranch_execz .LBB53_6
; %bb.2:
	s_load_dwordx2 s[2:3], s[4:5], 0x10
	v_ashrrev_i32_e32 v4, 31, v3
	v_lshlrev_b64 v[3:4], 3, v[3:4]
	v_cmp_neq_f32_e32 vcc, 0, v1
	v_cmp_neq_f32_e64 s[0:1], 0, v2
	s_or_b64 s[0:1], vcc, s[0:1]
	s_waitcnt lgkmcnt(0)
	v_mov_b32_e32 v0, s3
	v_add_co_u32_e32 v3, vcc, s2, v3
	v_addc_co_u32_e32 v4, vcc, v0, v4, vcc
	s_and_saveexec_b64 s[2:3], s[0:1]
	s_xor_b64 s[0:1], exec, s[2:3]
	s_cbranch_execz .LBB53_4
; %bb.3:
	global_load_dwordx2 v[5:6], v[3:4], off
	s_waitcnt vmcnt(0)
	v_mul_f32_e64 v7, v2, -v6
	v_mul_f32_e32 v8, v2, v5
	v_fmac_f32_e32 v7, v5, v1
	v_fmac_f32_e32 v8, v6, v1
	global_store_dwordx2 v[3:4], v[7:8], off
                                        ; implicit-def: $vgpr3_vgpr4
.LBB53_4:
	s_andn2_saveexec_b64 s[0:1], s[0:1]
	s_cbranch_execz .LBB53_6
; %bb.5:
	v_mov_b32_e32 v0, 0
	v_mov_b32_e32 v1, v0
	global_store_dwordx2 v[3:4], v[0:1], off
.LBB53_6:
	s_endpgm
	.section	.rodata,"a",@progbits
	.p2align	6, 0x0
	.amdhsa_kernel _ZN9rocsparseL12scale_kernelILj256Ei21rocsparse_complex_numIfES2_EEvT0_NS_24const_host_device_scalarIT2_EEPT1_b
		.amdhsa_group_segment_fixed_size 0
		.amdhsa_private_segment_fixed_size 0
		.amdhsa_kernarg_size 28
		.amdhsa_user_sgpr_count 6
		.amdhsa_user_sgpr_private_segment_buffer 1
		.amdhsa_user_sgpr_dispatch_ptr 0
		.amdhsa_user_sgpr_queue_ptr 0
		.amdhsa_user_sgpr_kernarg_segment_ptr 1
		.amdhsa_user_sgpr_dispatch_id 0
		.amdhsa_user_sgpr_flat_scratch_init 0
		.amdhsa_user_sgpr_private_segment_size 0
		.amdhsa_uses_dynamic_stack 0
		.amdhsa_system_sgpr_private_segment_wavefront_offset 0
		.amdhsa_system_sgpr_workgroup_id_x 1
		.amdhsa_system_sgpr_workgroup_id_y 0
		.amdhsa_system_sgpr_workgroup_id_z 0
		.amdhsa_system_sgpr_workgroup_info 0
		.amdhsa_system_vgpr_workitem_id 0
		.amdhsa_next_free_vgpr 9
		.amdhsa_next_free_sgpr 8
		.amdhsa_reserve_vcc 1
		.amdhsa_reserve_flat_scratch 0
		.amdhsa_float_round_mode_32 0
		.amdhsa_float_round_mode_16_64 0
		.amdhsa_float_denorm_mode_32 3
		.amdhsa_float_denorm_mode_16_64 3
		.amdhsa_dx10_clamp 1
		.amdhsa_ieee_mode 1
		.amdhsa_fp16_overflow 0
		.amdhsa_exception_fp_ieee_invalid_op 0
		.amdhsa_exception_fp_denorm_src 0
		.amdhsa_exception_fp_ieee_div_zero 0
		.amdhsa_exception_fp_ieee_overflow 0
		.amdhsa_exception_fp_ieee_underflow 0
		.amdhsa_exception_fp_ieee_inexact 0
		.amdhsa_exception_int_div_zero 0
	.end_amdhsa_kernel
	.section	.text._ZN9rocsparseL12scale_kernelILj256Ei21rocsparse_complex_numIfES2_EEvT0_NS_24const_host_device_scalarIT2_EEPT1_b,"axG",@progbits,_ZN9rocsparseL12scale_kernelILj256Ei21rocsparse_complex_numIfES2_EEvT0_NS_24const_host_device_scalarIT2_EEPT1_b,comdat
.Lfunc_end53:
	.size	_ZN9rocsparseL12scale_kernelILj256Ei21rocsparse_complex_numIfES2_EEvT0_NS_24const_host_device_scalarIT2_EEPT1_b, .Lfunc_end53-_ZN9rocsparseL12scale_kernelILj256Ei21rocsparse_complex_numIfES2_EEvT0_NS_24const_host_device_scalarIT2_EEPT1_b
                                        ; -- End function
	.set _ZN9rocsparseL12scale_kernelILj256Ei21rocsparse_complex_numIfES2_EEvT0_NS_24const_host_device_scalarIT2_EEPT1_b.num_vgpr, 9
	.set _ZN9rocsparseL12scale_kernelILj256Ei21rocsparse_complex_numIfES2_EEvT0_NS_24const_host_device_scalarIT2_EEPT1_b.num_agpr, 0
	.set _ZN9rocsparseL12scale_kernelILj256Ei21rocsparse_complex_numIfES2_EEvT0_NS_24const_host_device_scalarIT2_EEPT1_b.numbered_sgpr, 8
	.set _ZN9rocsparseL12scale_kernelILj256Ei21rocsparse_complex_numIfES2_EEvT0_NS_24const_host_device_scalarIT2_EEPT1_b.num_named_barrier, 0
	.set _ZN9rocsparseL12scale_kernelILj256Ei21rocsparse_complex_numIfES2_EEvT0_NS_24const_host_device_scalarIT2_EEPT1_b.private_seg_size, 0
	.set _ZN9rocsparseL12scale_kernelILj256Ei21rocsparse_complex_numIfES2_EEvT0_NS_24const_host_device_scalarIT2_EEPT1_b.uses_vcc, 1
	.set _ZN9rocsparseL12scale_kernelILj256Ei21rocsparse_complex_numIfES2_EEvT0_NS_24const_host_device_scalarIT2_EEPT1_b.uses_flat_scratch, 0
	.set _ZN9rocsparseL12scale_kernelILj256Ei21rocsparse_complex_numIfES2_EEvT0_NS_24const_host_device_scalarIT2_EEPT1_b.has_dyn_sized_stack, 0
	.set _ZN9rocsparseL12scale_kernelILj256Ei21rocsparse_complex_numIfES2_EEvT0_NS_24const_host_device_scalarIT2_EEPT1_b.has_recursion, 0
	.set _ZN9rocsparseL12scale_kernelILj256Ei21rocsparse_complex_numIfES2_EEvT0_NS_24const_host_device_scalarIT2_EEPT1_b.has_indirect_call, 0
	.section	.AMDGPU.csdata,"",@progbits
; Kernel info:
; codeLenInByte = 248
; TotalNumSgprs: 12
; NumVgprs: 9
; ScratchSize: 0
; MemoryBound: 0
; FloatMode: 240
; IeeeMode: 1
; LDSByteSize: 0 bytes/workgroup (compile time only)
; SGPRBlocks: 1
; VGPRBlocks: 2
; NumSGPRsForWavesPerEU: 12
; NumVGPRsForWavesPerEU: 9
; Occupancy: 10
; WaveLimiterHint : 0
; COMPUTE_PGM_RSRC2:SCRATCH_EN: 0
; COMPUTE_PGM_RSRC2:USER_SGPR: 6
; COMPUTE_PGM_RSRC2:TRAP_HANDLER: 0
; COMPUTE_PGM_RSRC2:TGID_X_EN: 1
; COMPUTE_PGM_RSRC2:TGID_Y_EN: 0
; COMPUTE_PGM_RSRC2:TGID_Z_EN: 0
; COMPUTE_PGM_RSRC2:TIDIG_COMP_CNT: 0
	.section	.text._ZN9rocsparseL12scale_kernelILj256Ei21rocsparse_complex_numIdES2_EEvT0_NS_24const_host_device_scalarIT2_EEPT1_b,"axG",@progbits,_ZN9rocsparseL12scale_kernelILj256Ei21rocsparse_complex_numIdES2_EEvT0_NS_24const_host_device_scalarIT2_EEPT1_b,comdat
	.globl	_ZN9rocsparseL12scale_kernelILj256Ei21rocsparse_complex_numIdES2_EEvT0_NS_24const_host_device_scalarIT2_EEPT1_b ; -- Begin function _ZN9rocsparseL12scale_kernelILj256Ei21rocsparse_complex_numIdES2_EEvT0_NS_24const_host_device_scalarIT2_EEPT1_b
	.p2align	8
	.type	_ZN9rocsparseL12scale_kernelILj256Ei21rocsparse_complex_numIdES2_EEvT0_NS_24const_host_device_scalarIT2_EEPT1_b,@function
_ZN9rocsparseL12scale_kernelILj256Ei21rocsparse_complex_numIdES2_EEvT0_NS_24const_host_device_scalarIT2_EEPT1_b: ; @_ZN9rocsparseL12scale_kernelILj256Ei21rocsparse_complex_numIdES2_EEvT0_NS_24const_host_device_scalarIT2_EEPT1_b
; %bb.0:
	s_load_dword s2, s[4:5], 0x20
	s_load_dwordx2 s[0:1], s[4:5], 0x8
	s_add_u32 s3, s4, 8
	s_addc_u32 s7, s5, 0
	s_waitcnt lgkmcnt(0)
	s_bitcmp1_b32 s2, 0
	s_cselect_b32 s1, s7, s1
	s_cselect_b32 s0, s3, s0
	v_mov_b32_e32 v1, s0
	v_mov_b32_e32 v2, s1
	flat_load_dwordx4 v[1:4], v[1:2]
	s_waitcnt vmcnt(0) lgkmcnt(0)
	v_cmp_neq_f64_e32 vcc, 1.0, v[1:2]
	v_cmp_neq_f64_e64 s[0:1], 0, v[3:4]
	s_or_b64 s[0:1], vcc, s[0:1]
	s_and_saveexec_b64 s[2:3], s[0:1]
	s_cbranch_execz .LBB54_5
; %bb.1:
	s_load_dword s0, s[4:5], 0x0
	v_lshl_or_b32 v9, s6, 8, v0
	s_waitcnt lgkmcnt(0)
	v_cmp_gt_i32_e32 vcc, s0, v9
	s_and_b64 exec, exec, vcc
	s_cbranch_execz .LBB54_5
; %bb.2:
	v_cmp_neq_f64_e32 vcc, 0, v[1:2]
	v_cmp_neq_f64_e64 s[0:1], 0, v[3:4]
	s_load_dwordx2 s[2:3], s[4:5], 0x18
	v_ashrrev_i32_e32 v10, 31, v9
	v_lshlrev_b64 v[9:10], 4, v[9:10]
	v_mov_b32_e32 v5, 0
	v_mov_b32_e32 v7, 0
	s_waitcnt lgkmcnt(0)
	v_mov_b32_e32 v0, s3
	v_mov_b32_e32 v6, 0
	s_or_b64 s[4:5], vcc, s[0:1]
	v_add_co_u32_e32 v9, vcc, s2, v9
	v_mov_b32_e32 v8, 0
	v_addc_co_u32_e32 v10, vcc, v0, v10, vcc
	s_and_saveexec_b64 s[0:1], s[4:5]
	s_cbranch_execz .LBB54_4
; %bb.3:
	global_load_dwordx4 v[5:8], v[9:10], off
	s_waitcnt vmcnt(0)
	v_mul_f64 v[11:12], v[3:4], -v[7:8]
	v_mul_f64 v[3:4], v[3:4], v[5:6]
	v_fma_f64 v[5:6], v[5:6], v[1:2], v[11:12]
	v_fma_f64 v[7:8], v[7:8], v[1:2], v[3:4]
.LBB54_4:
	s_or_b64 exec, exec, s[0:1]
	global_store_dwordx4 v[9:10], v[5:8], off
.LBB54_5:
	s_endpgm
	.section	.rodata,"a",@progbits
	.p2align	6, 0x0
	.amdhsa_kernel _ZN9rocsparseL12scale_kernelILj256Ei21rocsparse_complex_numIdES2_EEvT0_NS_24const_host_device_scalarIT2_EEPT1_b
		.amdhsa_group_segment_fixed_size 0
		.amdhsa_private_segment_fixed_size 0
		.amdhsa_kernarg_size 36
		.amdhsa_user_sgpr_count 6
		.amdhsa_user_sgpr_private_segment_buffer 1
		.amdhsa_user_sgpr_dispatch_ptr 0
		.amdhsa_user_sgpr_queue_ptr 0
		.amdhsa_user_sgpr_kernarg_segment_ptr 1
		.amdhsa_user_sgpr_dispatch_id 0
		.amdhsa_user_sgpr_flat_scratch_init 0
		.amdhsa_user_sgpr_private_segment_size 0
		.amdhsa_uses_dynamic_stack 0
		.amdhsa_system_sgpr_private_segment_wavefront_offset 0
		.amdhsa_system_sgpr_workgroup_id_x 1
		.amdhsa_system_sgpr_workgroup_id_y 0
		.amdhsa_system_sgpr_workgroup_id_z 0
		.amdhsa_system_sgpr_workgroup_info 0
		.amdhsa_system_vgpr_workitem_id 0
		.amdhsa_next_free_vgpr 13
		.amdhsa_next_free_sgpr 8
		.amdhsa_reserve_vcc 1
		.amdhsa_reserve_flat_scratch 0
		.amdhsa_float_round_mode_32 0
		.amdhsa_float_round_mode_16_64 0
		.amdhsa_float_denorm_mode_32 3
		.amdhsa_float_denorm_mode_16_64 3
		.amdhsa_dx10_clamp 1
		.amdhsa_ieee_mode 1
		.amdhsa_fp16_overflow 0
		.amdhsa_exception_fp_ieee_invalid_op 0
		.amdhsa_exception_fp_denorm_src 0
		.amdhsa_exception_fp_ieee_div_zero 0
		.amdhsa_exception_fp_ieee_overflow 0
		.amdhsa_exception_fp_ieee_underflow 0
		.amdhsa_exception_fp_ieee_inexact 0
		.amdhsa_exception_int_div_zero 0
	.end_amdhsa_kernel
	.section	.text._ZN9rocsparseL12scale_kernelILj256Ei21rocsparse_complex_numIdES2_EEvT0_NS_24const_host_device_scalarIT2_EEPT1_b,"axG",@progbits,_ZN9rocsparseL12scale_kernelILj256Ei21rocsparse_complex_numIdES2_EEvT0_NS_24const_host_device_scalarIT2_EEPT1_b,comdat
.Lfunc_end54:
	.size	_ZN9rocsparseL12scale_kernelILj256Ei21rocsparse_complex_numIdES2_EEvT0_NS_24const_host_device_scalarIT2_EEPT1_b, .Lfunc_end54-_ZN9rocsparseL12scale_kernelILj256Ei21rocsparse_complex_numIdES2_EEvT0_NS_24const_host_device_scalarIT2_EEPT1_b
                                        ; -- End function
	.set _ZN9rocsparseL12scale_kernelILj256Ei21rocsparse_complex_numIdES2_EEvT0_NS_24const_host_device_scalarIT2_EEPT1_b.num_vgpr, 13
	.set _ZN9rocsparseL12scale_kernelILj256Ei21rocsparse_complex_numIdES2_EEvT0_NS_24const_host_device_scalarIT2_EEPT1_b.num_agpr, 0
	.set _ZN9rocsparseL12scale_kernelILj256Ei21rocsparse_complex_numIdES2_EEvT0_NS_24const_host_device_scalarIT2_EEPT1_b.numbered_sgpr, 8
	.set _ZN9rocsparseL12scale_kernelILj256Ei21rocsparse_complex_numIdES2_EEvT0_NS_24const_host_device_scalarIT2_EEPT1_b.num_named_barrier, 0
	.set _ZN9rocsparseL12scale_kernelILj256Ei21rocsparse_complex_numIdES2_EEvT0_NS_24const_host_device_scalarIT2_EEPT1_b.private_seg_size, 0
	.set _ZN9rocsparseL12scale_kernelILj256Ei21rocsparse_complex_numIdES2_EEvT0_NS_24const_host_device_scalarIT2_EEPT1_b.uses_vcc, 1
	.set _ZN9rocsparseL12scale_kernelILj256Ei21rocsparse_complex_numIdES2_EEvT0_NS_24const_host_device_scalarIT2_EEPT1_b.uses_flat_scratch, 0
	.set _ZN9rocsparseL12scale_kernelILj256Ei21rocsparse_complex_numIdES2_EEvT0_NS_24const_host_device_scalarIT2_EEPT1_b.has_dyn_sized_stack, 0
	.set _ZN9rocsparseL12scale_kernelILj256Ei21rocsparse_complex_numIdES2_EEvT0_NS_24const_host_device_scalarIT2_EEPT1_b.has_recursion, 0
	.set _ZN9rocsparseL12scale_kernelILj256Ei21rocsparse_complex_numIdES2_EEvT0_NS_24const_host_device_scalarIT2_EEPT1_b.has_indirect_call, 0
	.section	.AMDGPU.csdata,"",@progbits
; Kernel info:
; codeLenInByte = 252
; TotalNumSgprs: 12
; NumVgprs: 13
; ScratchSize: 0
; MemoryBound: 0
; FloatMode: 240
; IeeeMode: 1
; LDSByteSize: 0 bytes/workgroup (compile time only)
; SGPRBlocks: 1
; VGPRBlocks: 3
; NumSGPRsForWavesPerEU: 12
; NumVGPRsForWavesPerEU: 13
; Occupancy: 10
; WaveLimiterHint : 0
; COMPUTE_PGM_RSRC2:SCRATCH_EN: 0
; COMPUTE_PGM_RSRC2:USER_SGPR: 6
; COMPUTE_PGM_RSRC2:TRAP_HANDLER: 0
; COMPUTE_PGM_RSRC2:TGID_X_EN: 1
; COMPUTE_PGM_RSRC2:TGID_Y_EN: 0
; COMPUTE_PGM_RSRC2:TGID_Z_EN: 0
; COMPUTE_PGM_RSRC2:TIDIG_COMP_CNT: 0
	.section	.text._ZN9rocsparseL12scale_kernelILj256El18rocsparse_bfloat16fEEvT0_NS_24const_host_device_scalarIT2_EEPT1_b,"axG",@progbits,_ZN9rocsparseL12scale_kernelILj256El18rocsparse_bfloat16fEEvT0_NS_24const_host_device_scalarIT2_EEPT1_b,comdat
	.globl	_ZN9rocsparseL12scale_kernelILj256El18rocsparse_bfloat16fEEvT0_NS_24const_host_device_scalarIT2_EEPT1_b ; -- Begin function _ZN9rocsparseL12scale_kernelILj256El18rocsparse_bfloat16fEEvT0_NS_24const_host_device_scalarIT2_EEPT1_b
	.p2align	8
	.type	_ZN9rocsparseL12scale_kernelILj256El18rocsparse_bfloat16fEEvT0_NS_24const_host_device_scalarIT2_EEPT1_b,@function
_ZN9rocsparseL12scale_kernelILj256El18rocsparse_bfloat16fEEvT0_NS_24const_host_device_scalarIT2_EEPT1_b: ; @_ZN9rocsparseL12scale_kernelILj256El18rocsparse_bfloat16fEEvT0_NS_24const_host_device_scalarIT2_EEPT1_b
; %bb.0:
	s_load_dword s7, s[4:5], 0x18
	s_load_dwordx4 s[0:3], s[4:5], 0x0
	s_waitcnt lgkmcnt(0)
	s_bitcmp1_b32 s7, 0
	s_cselect_b64 s[8:9], -1, 0
	s_and_b64 vcc, exec, s[8:9]
	s_cbranch_vccnz .LBB55_2
; %bb.1:
	s_load_dword s2, s[2:3], 0x0
.LBB55_2:
	v_lshl_or_b32 v0, s6, 8, v0
	v_mov_b32_e32 v1, 0
	v_cmp_gt_i64_e32 vcc, s[0:1], v[0:1]
	s_waitcnt lgkmcnt(0)
	v_cmp_eq_f32_e64 s[0:1], s2, 0
	v_cmp_neq_f32_e64 s[8:9], s2, 1.0
	s_and_b64 s[0:1], vcc, s[0:1]
	s_and_b64 s[0:1], s[8:9], s[0:1]
	s_and_saveexec_b64 s[2:3], s[0:1]
	s_cbranch_execz .LBB55_4
; %bb.3:
	s_load_dwordx2 s[0:1], s[4:5], 0x10
	v_lshlrev_b64 v[2:3], 1, v[0:1]
	s_waitcnt lgkmcnt(0)
	v_mov_b32_e32 v0, s1
	v_add_co_u32_e32 v2, vcc, s0, v2
	v_addc_co_u32_e32 v3, vcc, v0, v3, vcc
	global_store_short v[2:3], v1, off
.LBB55_4:
	s_endpgm
	.section	.rodata,"a",@progbits
	.p2align	6, 0x0
	.amdhsa_kernel _ZN9rocsparseL12scale_kernelILj256El18rocsparse_bfloat16fEEvT0_NS_24const_host_device_scalarIT2_EEPT1_b
		.amdhsa_group_segment_fixed_size 0
		.amdhsa_private_segment_fixed_size 0
		.amdhsa_kernarg_size 28
		.amdhsa_user_sgpr_count 6
		.amdhsa_user_sgpr_private_segment_buffer 1
		.amdhsa_user_sgpr_dispatch_ptr 0
		.amdhsa_user_sgpr_queue_ptr 0
		.amdhsa_user_sgpr_kernarg_segment_ptr 1
		.amdhsa_user_sgpr_dispatch_id 0
		.amdhsa_user_sgpr_flat_scratch_init 0
		.amdhsa_user_sgpr_private_segment_size 0
		.amdhsa_uses_dynamic_stack 0
		.amdhsa_system_sgpr_private_segment_wavefront_offset 0
		.amdhsa_system_sgpr_workgroup_id_x 1
		.amdhsa_system_sgpr_workgroup_id_y 0
		.amdhsa_system_sgpr_workgroup_id_z 0
		.amdhsa_system_sgpr_workgroup_info 0
		.amdhsa_system_vgpr_workitem_id 0
		.amdhsa_next_free_vgpr 4
		.amdhsa_next_free_sgpr 10
		.amdhsa_reserve_vcc 1
		.amdhsa_reserve_flat_scratch 0
		.amdhsa_float_round_mode_32 0
		.amdhsa_float_round_mode_16_64 0
		.amdhsa_float_denorm_mode_32 3
		.amdhsa_float_denorm_mode_16_64 3
		.amdhsa_dx10_clamp 1
		.amdhsa_ieee_mode 1
		.amdhsa_fp16_overflow 0
		.amdhsa_exception_fp_ieee_invalid_op 0
		.amdhsa_exception_fp_denorm_src 0
		.amdhsa_exception_fp_ieee_div_zero 0
		.amdhsa_exception_fp_ieee_overflow 0
		.amdhsa_exception_fp_ieee_underflow 0
		.amdhsa_exception_fp_ieee_inexact 0
		.amdhsa_exception_int_div_zero 0
	.end_amdhsa_kernel
	.section	.text._ZN9rocsparseL12scale_kernelILj256El18rocsparse_bfloat16fEEvT0_NS_24const_host_device_scalarIT2_EEPT1_b,"axG",@progbits,_ZN9rocsparseL12scale_kernelILj256El18rocsparse_bfloat16fEEvT0_NS_24const_host_device_scalarIT2_EEPT1_b,comdat
.Lfunc_end55:
	.size	_ZN9rocsparseL12scale_kernelILj256El18rocsparse_bfloat16fEEvT0_NS_24const_host_device_scalarIT2_EEPT1_b, .Lfunc_end55-_ZN9rocsparseL12scale_kernelILj256El18rocsparse_bfloat16fEEvT0_NS_24const_host_device_scalarIT2_EEPT1_b
                                        ; -- End function
	.set _ZN9rocsparseL12scale_kernelILj256El18rocsparse_bfloat16fEEvT0_NS_24const_host_device_scalarIT2_EEPT1_b.num_vgpr, 4
	.set _ZN9rocsparseL12scale_kernelILj256El18rocsparse_bfloat16fEEvT0_NS_24const_host_device_scalarIT2_EEPT1_b.num_agpr, 0
	.set _ZN9rocsparseL12scale_kernelILj256El18rocsparse_bfloat16fEEvT0_NS_24const_host_device_scalarIT2_EEPT1_b.numbered_sgpr, 10
	.set _ZN9rocsparseL12scale_kernelILj256El18rocsparse_bfloat16fEEvT0_NS_24const_host_device_scalarIT2_EEPT1_b.num_named_barrier, 0
	.set _ZN9rocsparseL12scale_kernelILj256El18rocsparse_bfloat16fEEvT0_NS_24const_host_device_scalarIT2_EEPT1_b.private_seg_size, 0
	.set _ZN9rocsparseL12scale_kernelILj256El18rocsparse_bfloat16fEEvT0_NS_24const_host_device_scalarIT2_EEPT1_b.uses_vcc, 1
	.set _ZN9rocsparseL12scale_kernelILj256El18rocsparse_bfloat16fEEvT0_NS_24const_host_device_scalarIT2_EEPT1_b.uses_flat_scratch, 0
	.set _ZN9rocsparseL12scale_kernelILj256El18rocsparse_bfloat16fEEvT0_NS_24const_host_device_scalarIT2_EEPT1_b.has_dyn_sized_stack, 0
	.set _ZN9rocsparseL12scale_kernelILj256El18rocsparse_bfloat16fEEvT0_NS_24const_host_device_scalarIT2_EEPT1_b.has_recursion, 0
	.set _ZN9rocsparseL12scale_kernelILj256El18rocsparse_bfloat16fEEvT0_NS_24const_host_device_scalarIT2_EEPT1_b.has_indirect_call, 0
	.section	.AMDGPU.csdata,"",@progbits
; Kernel info:
; codeLenInByte = 140
; TotalNumSgprs: 14
; NumVgprs: 4
; ScratchSize: 0
; MemoryBound: 0
; FloatMode: 240
; IeeeMode: 1
; LDSByteSize: 0 bytes/workgroup (compile time only)
; SGPRBlocks: 1
; VGPRBlocks: 0
; NumSGPRsForWavesPerEU: 14
; NumVGPRsForWavesPerEU: 4
; Occupancy: 10
; WaveLimiterHint : 0
; COMPUTE_PGM_RSRC2:SCRATCH_EN: 0
; COMPUTE_PGM_RSRC2:USER_SGPR: 6
; COMPUTE_PGM_RSRC2:TRAP_HANDLER: 0
; COMPUTE_PGM_RSRC2:TGID_X_EN: 1
; COMPUTE_PGM_RSRC2:TGID_Y_EN: 0
; COMPUTE_PGM_RSRC2:TGID_Z_EN: 0
; COMPUTE_PGM_RSRC2:TIDIG_COMP_CNT: 0
	.section	.text._ZN9rocsparseL12scale_kernelILj256ElDF16_fEEvT0_NS_24const_host_device_scalarIT2_EEPT1_b,"axG",@progbits,_ZN9rocsparseL12scale_kernelILj256ElDF16_fEEvT0_NS_24const_host_device_scalarIT2_EEPT1_b,comdat
	.globl	_ZN9rocsparseL12scale_kernelILj256ElDF16_fEEvT0_NS_24const_host_device_scalarIT2_EEPT1_b ; -- Begin function _ZN9rocsparseL12scale_kernelILj256ElDF16_fEEvT0_NS_24const_host_device_scalarIT2_EEPT1_b
	.p2align	8
	.type	_ZN9rocsparseL12scale_kernelILj256ElDF16_fEEvT0_NS_24const_host_device_scalarIT2_EEPT1_b,@function
_ZN9rocsparseL12scale_kernelILj256ElDF16_fEEvT0_NS_24const_host_device_scalarIT2_EEPT1_b: ; @_ZN9rocsparseL12scale_kernelILj256ElDF16_fEEvT0_NS_24const_host_device_scalarIT2_EEPT1_b
; %bb.0:
	s_load_dword s7, s[4:5], 0x18
	s_load_dwordx4 s[0:3], s[4:5], 0x0
	s_waitcnt lgkmcnt(0)
	s_bitcmp1_b32 s7, 0
	s_cselect_b64 s[8:9], -1, 0
	s_and_b64 vcc, exec, s[8:9]
	s_cbranch_vccnz .LBB56_2
; %bb.1:
	s_load_dword s2, s[2:3], 0x0
.LBB56_2:
	s_waitcnt lgkmcnt(0)
	v_cmp_eq_f32_e64 s[8:9], s2, 1.0
	s_and_b64 vcc, exec, s[8:9]
	s_cbranch_vccnz .LBB56_7
; %bb.3:
	v_lshl_or_b32 v0, s6, 8, v0
	v_mov_b32_e32 v1, 0
	v_cmp_gt_i64_e32 vcc, s[0:1], v[0:1]
	s_and_saveexec_b64 s[0:1], vcc
	s_cbranch_execz .LBB56_7
; %bb.4:
	s_load_dwordx2 s[0:1], s[4:5], 0x10
	v_lshlrev_b64 v[2:3], 1, v[0:1]
	v_cmp_eq_f32_e64 s[4:5], s2, 0
	s_waitcnt lgkmcnt(0)
	v_mov_b32_e32 v0, s1
	v_add_co_u32_e32 v2, vcc, s0, v2
	v_addc_co_u32_e32 v3, vcc, v0, v3, vcc
	s_and_b64 vcc, exec, s[4:5]
	s_cbranch_vccnz .LBB56_6
; %bb.5:
	global_load_ushort v0, v[2:3], off
	s_waitcnt vmcnt(0)
	v_fma_mixlo_f16 v1, s2, v0, 0 op_sel_hi:[0,1,0]
.LBB56_6:
	global_store_short v[2:3], v1, off
.LBB56_7:
	s_endpgm
	.section	.rodata,"a",@progbits
	.p2align	6, 0x0
	.amdhsa_kernel _ZN9rocsparseL12scale_kernelILj256ElDF16_fEEvT0_NS_24const_host_device_scalarIT2_EEPT1_b
		.amdhsa_group_segment_fixed_size 0
		.amdhsa_private_segment_fixed_size 0
		.amdhsa_kernarg_size 28
		.amdhsa_user_sgpr_count 6
		.amdhsa_user_sgpr_private_segment_buffer 1
		.amdhsa_user_sgpr_dispatch_ptr 0
		.amdhsa_user_sgpr_queue_ptr 0
		.amdhsa_user_sgpr_kernarg_segment_ptr 1
		.amdhsa_user_sgpr_dispatch_id 0
		.amdhsa_user_sgpr_flat_scratch_init 0
		.amdhsa_user_sgpr_private_segment_size 0
		.amdhsa_uses_dynamic_stack 0
		.amdhsa_system_sgpr_private_segment_wavefront_offset 0
		.amdhsa_system_sgpr_workgroup_id_x 1
		.amdhsa_system_sgpr_workgroup_id_y 0
		.amdhsa_system_sgpr_workgroup_id_z 0
		.amdhsa_system_sgpr_workgroup_info 0
		.amdhsa_system_vgpr_workitem_id 0
		.amdhsa_next_free_vgpr 4
		.amdhsa_next_free_sgpr 10
		.amdhsa_reserve_vcc 1
		.amdhsa_reserve_flat_scratch 0
		.amdhsa_float_round_mode_32 0
		.amdhsa_float_round_mode_16_64 0
		.amdhsa_float_denorm_mode_32 3
		.amdhsa_float_denorm_mode_16_64 3
		.amdhsa_dx10_clamp 1
		.amdhsa_ieee_mode 1
		.amdhsa_fp16_overflow 0
		.amdhsa_exception_fp_ieee_invalid_op 0
		.amdhsa_exception_fp_denorm_src 0
		.amdhsa_exception_fp_ieee_div_zero 0
		.amdhsa_exception_fp_ieee_overflow 0
		.amdhsa_exception_fp_ieee_underflow 0
		.amdhsa_exception_fp_ieee_inexact 0
		.amdhsa_exception_int_div_zero 0
	.end_amdhsa_kernel
	.section	.text._ZN9rocsparseL12scale_kernelILj256ElDF16_fEEvT0_NS_24const_host_device_scalarIT2_EEPT1_b,"axG",@progbits,_ZN9rocsparseL12scale_kernelILj256ElDF16_fEEvT0_NS_24const_host_device_scalarIT2_EEPT1_b,comdat
.Lfunc_end56:
	.size	_ZN9rocsparseL12scale_kernelILj256ElDF16_fEEvT0_NS_24const_host_device_scalarIT2_EEPT1_b, .Lfunc_end56-_ZN9rocsparseL12scale_kernelILj256ElDF16_fEEvT0_NS_24const_host_device_scalarIT2_EEPT1_b
                                        ; -- End function
	.set _ZN9rocsparseL12scale_kernelILj256ElDF16_fEEvT0_NS_24const_host_device_scalarIT2_EEPT1_b.num_vgpr, 4
	.set _ZN9rocsparseL12scale_kernelILj256ElDF16_fEEvT0_NS_24const_host_device_scalarIT2_EEPT1_b.num_agpr, 0
	.set _ZN9rocsparseL12scale_kernelILj256ElDF16_fEEvT0_NS_24const_host_device_scalarIT2_EEPT1_b.numbered_sgpr, 10
	.set _ZN9rocsparseL12scale_kernelILj256ElDF16_fEEvT0_NS_24const_host_device_scalarIT2_EEPT1_b.num_named_barrier, 0
	.set _ZN9rocsparseL12scale_kernelILj256ElDF16_fEEvT0_NS_24const_host_device_scalarIT2_EEPT1_b.private_seg_size, 0
	.set _ZN9rocsparseL12scale_kernelILj256ElDF16_fEEvT0_NS_24const_host_device_scalarIT2_EEPT1_b.uses_vcc, 1
	.set _ZN9rocsparseL12scale_kernelILj256ElDF16_fEEvT0_NS_24const_host_device_scalarIT2_EEPT1_b.uses_flat_scratch, 0
	.set _ZN9rocsparseL12scale_kernelILj256ElDF16_fEEvT0_NS_24const_host_device_scalarIT2_EEPT1_b.has_dyn_sized_stack, 0
	.set _ZN9rocsparseL12scale_kernelILj256ElDF16_fEEvT0_NS_24const_host_device_scalarIT2_EEPT1_b.has_recursion, 0
	.set _ZN9rocsparseL12scale_kernelILj256ElDF16_fEEvT0_NS_24const_host_device_scalarIT2_EEPT1_b.has_indirect_call, 0
	.section	.AMDGPU.csdata,"",@progbits
; Kernel info:
; codeLenInByte = 168
; TotalNumSgprs: 14
; NumVgprs: 4
; ScratchSize: 0
; MemoryBound: 0
; FloatMode: 240
; IeeeMode: 1
; LDSByteSize: 0 bytes/workgroup (compile time only)
; SGPRBlocks: 1
; VGPRBlocks: 0
; NumSGPRsForWavesPerEU: 14
; NumVGPRsForWavesPerEU: 4
; Occupancy: 10
; WaveLimiterHint : 0
; COMPUTE_PGM_RSRC2:SCRATCH_EN: 0
; COMPUTE_PGM_RSRC2:USER_SGPR: 6
; COMPUTE_PGM_RSRC2:TRAP_HANDLER: 0
; COMPUTE_PGM_RSRC2:TGID_X_EN: 1
; COMPUTE_PGM_RSRC2:TGID_Y_EN: 0
; COMPUTE_PGM_RSRC2:TGID_Z_EN: 0
; COMPUTE_PGM_RSRC2:TIDIG_COMP_CNT: 0
	.section	.text._ZN9rocsparseL12scale_kernelILj256EliiEEvT0_NS_24const_host_device_scalarIT2_EEPT1_b,"axG",@progbits,_ZN9rocsparseL12scale_kernelILj256EliiEEvT0_NS_24const_host_device_scalarIT2_EEPT1_b,comdat
	.globl	_ZN9rocsparseL12scale_kernelILj256EliiEEvT0_NS_24const_host_device_scalarIT2_EEPT1_b ; -- Begin function _ZN9rocsparseL12scale_kernelILj256EliiEEvT0_NS_24const_host_device_scalarIT2_EEPT1_b
	.p2align	8
	.type	_ZN9rocsparseL12scale_kernelILj256EliiEEvT0_NS_24const_host_device_scalarIT2_EEPT1_b,@function
_ZN9rocsparseL12scale_kernelILj256EliiEEvT0_NS_24const_host_device_scalarIT2_EEPT1_b: ; @_ZN9rocsparseL12scale_kernelILj256EliiEEvT0_NS_24const_host_device_scalarIT2_EEPT1_b
; %bb.0:
	s_load_dword s7, s[4:5], 0x18
	s_load_dwordx4 s[0:3], s[4:5], 0x0
	s_waitcnt lgkmcnt(0)
	s_bitcmp0_b32 s7, 0
	s_cbranch_scc0 .LBB57_2
; %bb.1:
	s_load_dword s3, s[2:3], 0x0
	s_cbranch_execz .LBB57_3
	s_branch .LBB57_4
.LBB57_2:
                                        ; implicit-def: $sgpr3
.LBB57_3:
	s_waitcnt lgkmcnt(0)
	s_mov_b32 s3, s2
.LBB57_4:
	s_waitcnt lgkmcnt(0)
	s_cmp_eq_u32 s3, 1
	s_cbranch_scc1 .LBB57_10
; %bb.5:
	v_lshl_or_b32 v0, s6, 8, v0
	v_mov_b32_e32 v1, 0
	v_cmp_gt_i64_e32 vcc, s[0:1], v[0:1]
	s_and_saveexec_b64 s[0:1], vcc
	s_cbranch_execz .LBB57_10
; %bb.6:
	s_load_dwordx2 s[0:1], s[4:5], 0x10
	v_lshlrev_b64 v[0:1], 2, v[0:1]
	s_cmp_eq_u32 s3, 0
	s_waitcnt lgkmcnt(0)
	v_mov_b32_e32 v2, s1
	v_add_co_u32_e32 v0, vcc, s0, v0
	v_addc_co_u32_e32 v1, vcc, v2, v1, vcc
	s_cbranch_scc1 .LBB57_8
; %bb.7:
	global_load_dword v2, v[0:1], off
	s_waitcnt vmcnt(0)
	v_mul_lo_u32 v2, v2, s3
	s_branch .LBB57_9
.LBB57_8:
	v_mov_b32_e32 v2, 0
.LBB57_9:
	global_store_dword v[0:1], v2, off
.LBB57_10:
	s_endpgm
	.section	.rodata,"a",@progbits
	.p2align	6, 0x0
	.amdhsa_kernel _ZN9rocsparseL12scale_kernelILj256EliiEEvT0_NS_24const_host_device_scalarIT2_EEPT1_b
		.amdhsa_group_segment_fixed_size 0
		.amdhsa_private_segment_fixed_size 0
		.amdhsa_kernarg_size 28
		.amdhsa_user_sgpr_count 6
		.amdhsa_user_sgpr_private_segment_buffer 1
		.amdhsa_user_sgpr_dispatch_ptr 0
		.amdhsa_user_sgpr_queue_ptr 0
		.amdhsa_user_sgpr_kernarg_segment_ptr 1
		.amdhsa_user_sgpr_dispatch_id 0
		.amdhsa_user_sgpr_flat_scratch_init 0
		.amdhsa_user_sgpr_private_segment_size 0
		.amdhsa_uses_dynamic_stack 0
		.amdhsa_system_sgpr_private_segment_wavefront_offset 0
		.amdhsa_system_sgpr_workgroup_id_x 1
		.amdhsa_system_sgpr_workgroup_id_y 0
		.amdhsa_system_sgpr_workgroup_id_z 0
		.amdhsa_system_sgpr_workgroup_info 0
		.amdhsa_system_vgpr_workitem_id 0
		.amdhsa_next_free_vgpr 3
		.amdhsa_next_free_sgpr 8
		.amdhsa_reserve_vcc 1
		.amdhsa_reserve_flat_scratch 0
		.amdhsa_float_round_mode_32 0
		.amdhsa_float_round_mode_16_64 0
		.amdhsa_float_denorm_mode_32 3
		.amdhsa_float_denorm_mode_16_64 3
		.amdhsa_dx10_clamp 1
		.amdhsa_ieee_mode 1
		.amdhsa_fp16_overflow 0
		.amdhsa_exception_fp_ieee_invalid_op 0
		.amdhsa_exception_fp_denorm_src 0
		.amdhsa_exception_fp_ieee_div_zero 0
		.amdhsa_exception_fp_ieee_overflow 0
		.amdhsa_exception_fp_ieee_underflow 0
		.amdhsa_exception_fp_ieee_inexact 0
		.amdhsa_exception_int_div_zero 0
	.end_amdhsa_kernel
	.section	.text._ZN9rocsparseL12scale_kernelILj256EliiEEvT0_NS_24const_host_device_scalarIT2_EEPT1_b,"axG",@progbits,_ZN9rocsparseL12scale_kernelILj256EliiEEvT0_NS_24const_host_device_scalarIT2_EEPT1_b,comdat
.Lfunc_end57:
	.size	_ZN9rocsparseL12scale_kernelILj256EliiEEvT0_NS_24const_host_device_scalarIT2_EEPT1_b, .Lfunc_end57-_ZN9rocsparseL12scale_kernelILj256EliiEEvT0_NS_24const_host_device_scalarIT2_EEPT1_b
                                        ; -- End function
	.set _ZN9rocsparseL12scale_kernelILj256EliiEEvT0_NS_24const_host_device_scalarIT2_EEPT1_b.num_vgpr, 3
	.set _ZN9rocsparseL12scale_kernelILj256EliiEEvT0_NS_24const_host_device_scalarIT2_EEPT1_b.num_agpr, 0
	.set _ZN9rocsparseL12scale_kernelILj256EliiEEvT0_NS_24const_host_device_scalarIT2_EEPT1_b.numbered_sgpr, 8
	.set _ZN9rocsparseL12scale_kernelILj256EliiEEvT0_NS_24const_host_device_scalarIT2_EEPT1_b.num_named_barrier, 0
	.set _ZN9rocsparseL12scale_kernelILj256EliiEEvT0_NS_24const_host_device_scalarIT2_EEPT1_b.private_seg_size, 0
	.set _ZN9rocsparseL12scale_kernelILj256EliiEEvT0_NS_24const_host_device_scalarIT2_EEPT1_b.uses_vcc, 1
	.set _ZN9rocsparseL12scale_kernelILj256EliiEEvT0_NS_24const_host_device_scalarIT2_EEPT1_b.uses_flat_scratch, 0
	.set _ZN9rocsparseL12scale_kernelILj256EliiEEvT0_NS_24const_host_device_scalarIT2_EEPT1_b.has_dyn_sized_stack, 0
	.set _ZN9rocsparseL12scale_kernelILj256EliiEEvT0_NS_24const_host_device_scalarIT2_EEPT1_b.has_recursion, 0
	.set _ZN9rocsparseL12scale_kernelILj256EliiEEvT0_NS_24const_host_device_scalarIT2_EEPT1_b.has_indirect_call, 0
	.section	.AMDGPU.csdata,"",@progbits
; Kernel info:
; codeLenInByte = 168
; TotalNumSgprs: 12
; NumVgprs: 3
; ScratchSize: 0
; MemoryBound: 0
; FloatMode: 240
; IeeeMode: 1
; LDSByteSize: 0 bytes/workgroup (compile time only)
; SGPRBlocks: 1
; VGPRBlocks: 0
; NumSGPRsForWavesPerEU: 12
; NumVGPRsForWavesPerEU: 3
; Occupancy: 10
; WaveLimiterHint : 0
; COMPUTE_PGM_RSRC2:SCRATCH_EN: 0
; COMPUTE_PGM_RSRC2:USER_SGPR: 6
; COMPUTE_PGM_RSRC2:TRAP_HANDLER: 0
; COMPUTE_PGM_RSRC2:TGID_X_EN: 1
; COMPUTE_PGM_RSRC2:TGID_Y_EN: 0
; COMPUTE_PGM_RSRC2:TGID_Z_EN: 0
; COMPUTE_PGM_RSRC2:TIDIG_COMP_CNT: 0
	.section	.text._ZN9rocsparseL12scale_kernelILj256ElffEEvT0_NS_24const_host_device_scalarIT2_EEPT1_b,"axG",@progbits,_ZN9rocsparseL12scale_kernelILj256ElffEEvT0_NS_24const_host_device_scalarIT2_EEPT1_b,comdat
	.globl	_ZN9rocsparseL12scale_kernelILj256ElffEEvT0_NS_24const_host_device_scalarIT2_EEPT1_b ; -- Begin function _ZN9rocsparseL12scale_kernelILj256ElffEEvT0_NS_24const_host_device_scalarIT2_EEPT1_b
	.p2align	8
	.type	_ZN9rocsparseL12scale_kernelILj256ElffEEvT0_NS_24const_host_device_scalarIT2_EEPT1_b,@function
_ZN9rocsparseL12scale_kernelILj256ElffEEvT0_NS_24const_host_device_scalarIT2_EEPT1_b: ; @_ZN9rocsparseL12scale_kernelILj256ElffEEvT0_NS_24const_host_device_scalarIT2_EEPT1_b
; %bb.0:
	s_load_dword s7, s[4:5], 0x18
	s_load_dwordx4 s[0:3], s[4:5], 0x0
	s_waitcnt lgkmcnt(0)
	s_bitcmp1_b32 s7, 0
	s_cselect_b64 s[8:9], -1, 0
	s_and_b64 vcc, exec, s[8:9]
	s_cbranch_vccnz .LBB58_2
; %bb.1:
	s_load_dword s2, s[2:3], 0x0
.LBB58_2:
	s_waitcnt lgkmcnt(0)
	v_cmp_eq_f32_e64 s[8:9], s2, 1.0
	s_and_b64 vcc, exec, s[8:9]
	s_cbranch_vccnz .LBB58_7
; %bb.3:
	v_lshl_or_b32 v0, s6, 8, v0
	v_mov_b32_e32 v1, 0
	v_cmp_gt_i64_e32 vcc, s[0:1], v[0:1]
	s_and_saveexec_b64 s[0:1], vcc
	s_cbranch_execz .LBB58_7
; %bb.4:
	s_load_dwordx2 s[0:1], s[4:5], 0x10
	v_lshlrev_b64 v[2:3], 2, v[0:1]
	v_cmp_eq_f32_e64 s[4:5], s2, 0
	s_waitcnt lgkmcnt(0)
	v_mov_b32_e32 v0, s1
	v_add_co_u32_e32 v2, vcc, s0, v2
	v_addc_co_u32_e32 v3, vcc, v0, v3, vcc
	s_and_b64 vcc, exec, s[4:5]
	s_cbranch_vccnz .LBB58_6
; %bb.5:
	global_load_dword v0, v[2:3], off
	s_waitcnt vmcnt(0)
	v_mul_f32_e32 v1, s2, v0
.LBB58_6:
	global_store_dword v[2:3], v1, off
.LBB58_7:
	s_endpgm
	.section	.rodata,"a",@progbits
	.p2align	6, 0x0
	.amdhsa_kernel _ZN9rocsparseL12scale_kernelILj256ElffEEvT0_NS_24const_host_device_scalarIT2_EEPT1_b
		.amdhsa_group_segment_fixed_size 0
		.amdhsa_private_segment_fixed_size 0
		.amdhsa_kernarg_size 28
		.amdhsa_user_sgpr_count 6
		.amdhsa_user_sgpr_private_segment_buffer 1
		.amdhsa_user_sgpr_dispatch_ptr 0
		.amdhsa_user_sgpr_queue_ptr 0
		.amdhsa_user_sgpr_kernarg_segment_ptr 1
		.amdhsa_user_sgpr_dispatch_id 0
		.amdhsa_user_sgpr_flat_scratch_init 0
		.amdhsa_user_sgpr_private_segment_size 0
		.amdhsa_uses_dynamic_stack 0
		.amdhsa_system_sgpr_private_segment_wavefront_offset 0
		.amdhsa_system_sgpr_workgroup_id_x 1
		.amdhsa_system_sgpr_workgroup_id_y 0
		.amdhsa_system_sgpr_workgroup_id_z 0
		.amdhsa_system_sgpr_workgroup_info 0
		.amdhsa_system_vgpr_workitem_id 0
		.amdhsa_next_free_vgpr 4
		.amdhsa_next_free_sgpr 10
		.amdhsa_reserve_vcc 1
		.amdhsa_reserve_flat_scratch 0
		.amdhsa_float_round_mode_32 0
		.amdhsa_float_round_mode_16_64 0
		.amdhsa_float_denorm_mode_32 3
		.amdhsa_float_denorm_mode_16_64 3
		.amdhsa_dx10_clamp 1
		.amdhsa_ieee_mode 1
		.amdhsa_fp16_overflow 0
		.amdhsa_exception_fp_ieee_invalid_op 0
		.amdhsa_exception_fp_denorm_src 0
		.amdhsa_exception_fp_ieee_div_zero 0
		.amdhsa_exception_fp_ieee_overflow 0
		.amdhsa_exception_fp_ieee_underflow 0
		.amdhsa_exception_fp_ieee_inexact 0
		.amdhsa_exception_int_div_zero 0
	.end_amdhsa_kernel
	.section	.text._ZN9rocsparseL12scale_kernelILj256ElffEEvT0_NS_24const_host_device_scalarIT2_EEPT1_b,"axG",@progbits,_ZN9rocsparseL12scale_kernelILj256ElffEEvT0_NS_24const_host_device_scalarIT2_EEPT1_b,comdat
.Lfunc_end58:
	.size	_ZN9rocsparseL12scale_kernelILj256ElffEEvT0_NS_24const_host_device_scalarIT2_EEPT1_b, .Lfunc_end58-_ZN9rocsparseL12scale_kernelILj256ElffEEvT0_NS_24const_host_device_scalarIT2_EEPT1_b
                                        ; -- End function
	.set _ZN9rocsparseL12scale_kernelILj256ElffEEvT0_NS_24const_host_device_scalarIT2_EEPT1_b.num_vgpr, 4
	.set _ZN9rocsparseL12scale_kernelILj256ElffEEvT0_NS_24const_host_device_scalarIT2_EEPT1_b.num_agpr, 0
	.set _ZN9rocsparseL12scale_kernelILj256ElffEEvT0_NS_24const_host_device_scalarIT2_EEPT1_b.numbered_sgpr, 10
	.set _ZN9rocsparseL12scale_kernelILj256ElffEEvT0_NS_24const_host_device_scalarIT2_EEPT1_b.num_named_barrier, 0
	.set _ZN9rocsparseL12scale_kernelILj256ElffEEvT0_NS_24const_host_device_scalarIT2_EEPT1_b.private_seg_size, 0
	.set _ZN9rocsparseL12scale_kernelILj256ElffEEvT0_NS_24const_host_device_scalarIT2_EEPT1_b.uses_vcc, 1
	.set _ZN9rocsparseL12scale_kernelILj256ElffEEvT0_NS_24const_host_device_scalarIT2_EEPT1_b.uses_flat_scratch, 0
	.set _ZN9rocsparseL12scale_kernelILj256ElffEEvT0_NS_24const_host_device_scalarIT2_EEPT1_b.has_dyn_sized_stack, 0
	.set _ZN9rocsparseL12scale_kernelILj256ElffEEvT0_NS_24const_host_device_scalarIT2_EEPT1_b.has_recursion, 0
	.set _ZN9rocsparseL12scale_kernelILj256ElffEEvT0_NS_24const_host_device_scalarIT2_EEPT1_b.has_indirect_call, 0
	.section	.AMDGPU.csdata,"",@progbits
; Kernel info:
; codeLenInByte = 164
; TotalNumSgprs: 14
; NumVgprs: 4
; ScratchSize: 0
; MemoryBound: 0
; FloatMode: 240
; IeeeMode: 1
; LDSByteSize: 0 bytes/workgroup (compile time only)
; SGPRBlocks: 1
; VGPRBlocks: 0
; NumSGPRsForWavesPerEU: 14
; NumVGPRsForWavesPerEU: 4
; Occupancy: 10
; WaveLimiterHint : 0
; COMPUTE_PGM_RSRC2:SCRATCH_EN: 0
; COMPUTE_PGM_RSRC2:USER_SGPR: 6
; COMPUTE_PGM_RSRC2:TRAP_HANDLER: 0
; COMPUTE_PGM_RSRC2:TGID_X_EN: 1
; COMPUTE_PGM_RSRC2:TGID_Y_EN: 0
; COMPUTE_PGM_RSRC2:TGID_Z_EN: 0
; COMPUTE_PGM_RSRC2:TIDIG_COMP_CNT: 0
	.section	.text._ZN9rocsparseL12scale_kernelILj256ElddEEvT0_NS_24const_host_device_scalarIT2_EEPT1_b,"axG",@progbits,_ZN9rocsparseL12scale_kernelILj256ElddEEvT0_NS_24const_host_device_scalarIT2_EEPT1_b,comdat
	.globl	_ZN9rocsparseL12scale_kernelILj256ElddEEvT0_NS_24const_host_device_scalarIT2_EEPT1_b ; -- Begin function _ZN9rocsparseL12scale_kernelILj256ElddEEvT0_NS_24const_host_device_scalarIT2_EEPT1_b
	.p2align	8
	.type	_ZN9rocsparseL12scale_kernelILj256ElddEEvT0_NS_24const_host_device_scalarIT2_EEPT1_b,@function
_ZN9rocsparseL12scale_kernelILj256ElddEEvT0_NS_24const_host_device_scalarIT2_EEPT1_b: ; @_ZN9rocsparseL12scale_kernelILj256ElddEEvT0_NS_24const_host_device_scalarIT2_EEPT1_b
; %bb.0:
	s_load_dword s7, s[4:5], 0x18
	s_load_dwordx4 s[0:3], s[4:5], 0x0
	s_waitcnt lgkmcnt(0)
	s_bitcmp1_b32 s7, 0
	s_cselect_b64 s[8:9], -1, 0
	v_mov_b32_e32 v1, s2
	s_and_b64 vcc, exec, s[8:9]
	v_mov_b32_e32 v2, s3
	s_cbranch_vccnz .LBB59_2
; %bb.1:
	v_mov_b32_e32 v1, s2
	v_mov_b32_e32 v2, s3
	flat_load_dwordx2 v[1:2], v[1:2]
.LBB59_2:
	s_waitcnt vmcnt(0) lgkmcnt(0)
	v_cmp_neq_f64_e32 vcc, 1.0, v[1:2]
	s_and_saveexec_b64 s[2:3], vcc
	s_cbranch_execz .LBB59_7
; %bb.3:
	v_lshl_or_b32 v5, s6, 8, v0
	v_mov_b32_e32 v6, 0
	v_cmp_gt_i64_e32 vcc, s[0:1], v[5:6]
	s_and_b64 exec, exec, vcc
	s_cbranch_execz .LBB59_7
; %bb.4:
	v_cmp_neq_f64_e32 vcc, 0, v[1:2]
	s_load_dwordx2 s[0:1], s[4:5], 0x10
	v_lshlrev_b64 v[5:6], 3, v[5:6]
	v_mov_b32_e32 v3, 0
	v_mov_b32_e32 v4, 0
	s_waitcnt lgkmcnt(0)
	v_mov_b32_e32 v0, s1
	v_add_co_u32_e64 v5, s[0:1], s0, v5
	v_addc_co_u32_e64 v6, s[0:1], v0, v6, s[0:1]
	s_and_saveexec_b64 s[0:1], vcc
	s_cbranch_execz .LBB59_6
; %bb.5:
	global_load_dwordx2 v[3:4], v[5:6], off
	s_waitcnt vmcnt(0)
	v_mul_f64 v[3:4], v[1:2], v[3:4]
.LBB59_6:
	s_or_b64 exec, exec, s[0:1]
	global_store_dwordx2 v[5:6], v[3:4], off
.LBB59_7:
	s_endpgm
	.section	.rodata,"a",@progbits
	.p2align	6, 0x0
	.amdhsa_kernel _ZN9rocsparseL12scale_kernelILj256ElddEEvT0_NS_24const_host_device_scalarIT2_EEPT1_b
		.amdhsa_group_segment_fixed_size 0
		.amdhsa_private_segment_fixed_size 0
		.amdhsa_kernarg_size 28
		.amdhsa_user_sgpr_count 6
		.amdhsa_user_sgpr_private_segment_buffer 1
		.amdhsa_user_sgpr_dispatch_ptr 0
		.amdhsa_user_sgpr_queue_ptr 0
		.amdhsa_user_sgpr_kernarg_segment_ptr 1
		.amdhsa_user_sgpr_dispatch_id 0
		.amdhsa_user_sgpr_flat_scratch_init 0
		.amdhsa_user_sgpr_private_segment_size 0
		.amdhsa_uses_dynamic_stack 0
		.amdhsa_system_sgpr_private_segment_wavefront_offset 0
		.amdhsa_system_sgpr_workgroup_id_x 1
		.amdhsa_system_sgpr_workgroup_id_y 0
		.amdhsa_system_sgpr_workgroup_id_z 0
		.amdhsa_system_sgpr_workgroup_info 0
		.amdhsa_system_vgpr_workitem_id 0
		.amdhsa_next_free_vgpr 7
		.amdhsa_next_free_sgpr 10
		.amdhsa_reserve_vcc 1
		.amdhsa_reserve_flat_scratch 0
		.amdhsa_float_round_mode_32 0
		.amdhsa_float_round_mode_16_64 0
		.amdhsa_float_denorm_mode_32 3
		.amdhsa_float_denorm_mode_16_64 3
		.amdhsa_dx10_clamp 1
		.amdhsa_ieee_mode 1
		.amdhsa_fp16_overflow 0
		.amdhsa_exception_fp_ieee_invalid_op 0
		.amdhsa_exception_fp_denorm_src 0
		.amdhsa_exception_fp_ieee_div_zero 0
		.amdhsa_exception_fp_ieee_overflow 0
		.amdhsa_exception_fp_ieee_underflow 0
		.amdhsa_exception_fp_ieee_inexact 0
		.amdhsa_exception_int_div_zero 0
	.end_amdhsa_kernel
	.section	.text._ZN9rocsparseL12scale_kernelILj256ElddEEvT0_NS_24const_host_device_scalarIT2_EEPT1_b,"axG",@progbits,_ZN9rocsparseL12scale_kernelILj256ElddEEvT0_NS_24const_host_device_scalarIT2_EEPT1_b,comdat
.Lfunc_end59:
	.size	_ZN9rocsparseL12scale_kernelILj256ElddEEvT0_NS_24const_host_device_scalarIT2_EEPT1_b, .Lfunc_end59-_ZN9rocsparseL12scale_kernelILj256ElddEEvT0_NS_24const_host_device_scalarIT2_EEPT1_b
                                        ; -- End function
	.set _ZN9rocsparseL12scale_kernelILj256ElddEEvT0_NS_24const_host_device_scalarIT2_EEPT1_b.num_vgpr, 7
	.set _ZN9rocsparseL12scale_kernelILj256ElddEEvT0_NS_24const_host_device_scalarIT2_EEPT1_b.num_agpr, 0
	.set _ZN9rocsparseL12scale_kernelILj256ElddEEvT0_NS_24const_host_device_scalarIT2_EEPT1_b.numbered_sgpr, 10
	.set _ZN9rocsparseL12scale_kernelILj256ElddEEvT0_NS_24const_host_device_scalarIT2_EEPT1_b.num_named_barrier, 0
	.set _ZN9rocsparseL12scale_kernelILj256ElddEEvT0_NS_24const_host_device_scalarIT2_EEPT1_b.private_seg_size, 0
	.set _ZN9rocsparseL12scale_kernelILj256ElddEEvT0_NS_24const_host_device_scalarIT2_EEPT1_b.uses_vcc, 1
	.set _ZN9rocsparseL12scale_kernelILj256ElddEEvT0_NS_24const_host_device_scalarIT2_EEPT1_b.uses_flat_scratch, 0
	.set _ZN9rocsparseL12scale_kernelILj256ElddEEvT0_NS_24const_host_device_scalarIT2_EEPT1_b.has_dyn_sized_stack, 0
	.set _ZN9rocsparseL12scale_kernelILj256ElddEEvT0_NS_24const_host_device_scalarIT2_EEPT1_b.has_recursion, 0
	.set _ZN9rocsparseL12scale_kernelILj256ElddEEvT0_NS_24const_host_device_scalarIT2_EEPT1_b.has_indirect_call, 0
	.section	.AMDGPU.csdata,"",@progbits
; Kernel info:
; codeLenInByte = 196
; TotalNumSgprs: 14
; NumVgprs: 7
; ScratchSize: 0
; MemoryBound: 1
; FloatMode: 240
; IeeeMode: 1
; LDSByteSize: 0 bytes/workgroup (compile time only)
; SGPRBlocks: 1
; VGPRBlocks: 1
; NumSGPRsForWavesPerEU: 14
; NumVGPRsForWavesPerEU: 7
; Occupancy: 10
; WaveLimiterHint : 0
; COMPUTE_PGM_RSRC2:SCRATCH_EN: 0
; COMPUTE_PGM_RSRC2:USER_SGPR: 6
; COMPUTE_PGM_RSRC2:TRAP_HANDLER: 0
; COMPUTE_PGM_RSRC2:TGID_X_EN: 1
; COMPUTE_PGM_RSRC2:TGID_Y_EN: 0
; COMPUTE_PGM_RSRC2:TGID_Z_EN: 0
; COMPUTE_PGM_RSRC2:TIDIG_COMP_CNT: 0
	.section	.text._ZN9rocsparseL12scale_kernelILj256El21rocsparse_complex_numIfES2_EEvT0_NS_24const_host_device_scalarIT2_EEPT1_b,"axG",@progbits,_ZN9rocsparseL12scale_kernelILj256El21rocsparse_complex_numIfES2_EEvT0_NS_24const_host_device_scalarIT2_EEPT1_b,comdat
	.globl	_ZN9rocsparseL12scale_kernelILj256El21rocsparse_complex_numIfES2_EEvT0_NS_24const_host_device_scalarIT2_EEPT1_b ; -- Begin function _ZN9rocsparseL12scale_kernelILj256El21rocsparse_complex_numIfES2_EEvT0_NS_24const_host_device_scalarIT2_EEPT1_b
	.p2align	8
	.type	_ZN9rocsparseL12scale_kernelILj256El21rocsparse_complex_numIfES2_EEvT0_NS_24const_host_device_scalarIT2_EEPT1_b,@function
_ZN9rocsparseL12scale_kernelILj256El21rocsparse_complex_numIfES2_EEvT0_NS_24const_host_device_scalarIT2_EEPT1_b: ; @_ZN9rocsparseL12scale_kernelILj256El21rocsparse_complex_numIfES2_EEvT0_NS_24const_host_device_scalarIT2_EEPT1_b
; %bb.0:
	s_load_dword s0, s[4:5], 0x18
	s_load_dwordx4 s[8:11], s[4:5], 0x0
	s_or_b32 s1, s4, 8
	s_waitcnt lgkmcnt(0)
	s_bitcmp1_b32 s0, 0
	s_cselect_b32 s0, s5, s11
	s_cselect_b32 s1, s1, s10
	v_mov_b32_e32 v1, s1
	v_mov_b32_e32 v2, s0
	flat_load_dwordx2 v[1:2], v[1:2]
	s_waitcnt vmcnt(0) lgkmcnt(0)
	v_cmp_neq_f32_e32 vcc, 1.0, v1
	v_cmp_neq_f32_e64 s[0:1], 0, v2
	s_or_b64 s[0:1], vcc, s[0:1]
	s_and_saveexec_b64 s[2:3], s[0:1]
	s_cbranch_execz .LBB60_6
; %bb.1:
	v_lshl_or_b32 v3, s6, 8, v0
	v_mov_b32_e32 v4, 0
	v_cmp_gt_i64_e32 vcc, s[8:9], v[3:4]
	s_and_b64 exec, exec, vcc
	s_cbranch_execz .LBB60_6
; %bb.2:
	s_load_dwordx2 s[2:3], s[4:5], 0x10
	v_lshlrev_b64 v[3:4], 3, v[3:4]
	v_cmp_neq_f32_e32 vcc, 0, v1
	v_cmp_neq_f32_e64 s[0:1], 0, v2
	s_or_b64 s[0:1], vcc, s[0:1]
	s_waitcnt lgkmcnt(0)
	v_mov_b32_e32 v0, s3
	v_add_co_u32_e32 v3, vcc, s2, v3
	v_addc_co_u32_e32 v4, vcc, v0, v4, vcc
	s_and_saveexec_b64 s[2:3], s[0:1]
	s_xor_b64 s[0:1], exec, s[2:3]
	s_cbranch_execz .LBB60_4
; %bb.3:
	global_load_dwordx2 v[5:6], v[3:4], off
	s_waitcnt vmcnt(0)
	v_mul_f32_e64 v7, v2, -v6
	v_mul_f32_e32 v8, v2, v5
	v_fmac_f32_e32 v7, v5, v1
	v_fmac_f32_e32 v8, v6, v1
	global_store_dwordx2 v[3:4], v[7:8], off
                                        ; implicit-def: $vgpr3_vgpr4
.LBB60_4:
	s_andn2_saveexec_b64 s[0:1], s[0:1]
	s_cbranch_execz .LBB60_6
; %bb.5:
	v_mov_b32_e32 v0, 0
	v_mov_b32_e32 v1, v0
	global_store_dwordx2 v[3:4], v[0:1], off
.LBB60_6:
	s_endpgm
	.section	.rodata,"a",@progbits
	.p2align	6, 0x0
	.amdhsa_kernel _ZN9rocsparseL12scale_kernelILj256El21rocsparse_complex_numIfES2_EEvT0_NS_24const_host_device_scalarIT2_EEPT1_b
		.amdhsa_group_segment_fixed_size 0
		.amdhsa_private_segment_fixed_size 0
		.amdhsa_kernarg_size 28
		.amdhsa_user_sgpr_count 6
		.amdhsa_user_sgpr_private_segment_buffer 1
		.amdhsa_user_sgpr_dispatch_ptr 0
		.amdhsa_user_sgpr_queue_ptr 0
		.amdhsa_user_sgpr_kernarg_segment_ptr 1
		.amdhsa_user_sgpr_dispatch_id 0
		.amdhsa_user_sgpr_flat_scratch_init 0
		.amdhsa_user_sgpr_private_segment_size 0
		.amdhsa_uses_dynamic_stack 0
		.amdhsa_system_sgpr_private_segment_wavefront_offset 0
		.amdhsa_system_sgpr_workgroup_id_x 1
		.amdhsa_system_sgpr_workgroup_id_y 0
		.amdhsa_system_sgpr_workgroup_id_z 0
		.amdhsa_system_sgpr_workgroup_info 0
		.amdhsa_system_vgpr_workitem_id 0
		.amdhsa_next_free_vgpr 9
		.amdhsa_next_free_sgpr 12
		.amdhsa_reserve_vcc 1
		.amdhsa_reserve_flat_scratch 0
		.amdhsa_float_round_mode_32 0
		.amdhsa_float_round_mode_16_64 0
		.amdhsa_float_denorm_mode_32 3
		.amdhsa_float_denorm_mode_16_64 3
		.amdhsa_dx10_clamp 1
		.amdhsa_ieee_mode 1
		.amdhsa_fp16_overflow 0
		.amdhsa_exception_fp_ieee_invalid_op 0
		.amdhsa_exception_fp_denorm_src 0
		.amdhsa_exception_fp_ieee_div_zero 0
		.amdhsa_exception_fp_ieee_overflow 0
		.amdhsa_exception_fp_ieee_underflow 0
		.amdhsa_exception_fp_ieee_inexact 0
		.amdhsa_exception_int_div_zero 0
	.end_amdhsa_kernel
	.section	.text._ZN9rocsparseL12scale_kernelILj256El21rocsparse_complex_numIfES2_EEvT0_NS_24const_host_device_scalarIT2_EEPT1_b,"axG",@progbits,_ZN9rocsparseL12scale_kernelILj256El21rocsparse_complex_numIfES2_EEvT0_NS_24const_host_device_scalarIT2_EEPT1_b,comdat
.Lfunc_end60:
	.size	_ZN9rocsparseL12scale_kernelILj256El21rocsparse_complex_numIfES2_EEvT0_NS_24const_host_device_scalarIT2_EEPT1_b, .Lfunc_end60-_ZN9rocsparseL12scale_kernelILj256El21rocsparse_complex_numIfES2_EEvT0_NS_24const_host_device_scalarIT2_EEPT1_b
                                        ; -- End function
	.set _ZN9rocsparseL12scale_kernelILj256El21rocsparse_complex_numIfES2_EEvT0_NS_24const_host_device_scalarIT2_EEPT1_b.num_vgpr, 9
	.set _ZN9rocsparseL12scale_kernelILj256El21rocsparse_complex_numIfES2_EEvT0_NS_24const_host_device_scalarIT2_EEPT1_b.num_agpr, 0
	.set _ZN9rocsparseL12scale_kernelILj256El21rocsparse_complex_numIfES2_EEvT0_NS_24const_host_device_scalarIT2_EEPT1_b.numbered_sgpr, 12
	.set _ZN9rocsparseL12scale_kernelILj256El21rocsparse_complex_numIfES2_EEvT0_NS_24const_host_device_scalarIT2_EEPT1_b.num_named_barrier, 0
	.set _ZN9rocsparseL12scale_kernelILj256El21rocsparse_complex_numIfES2_EEvT0_NS_24const_host_device_scalarIT2_EEPT1_b.private_seg_size, 0
	.set _ZN9rocsparseL12scale_kernelILj256El21rocsparse_complex_numIfES2_EEvT0_NS_24const_host_device_scalarIT2_EEPT1_b.uses_vcc, 1
	.set _ZN9rocsparseL12scale_kernelILj256El21rocsparse_complex_numIfES2_EEvT0_NS_24const_host_device_scalarIT2_EEPT1_b.uses_flat_scratch, 0
	.set _ZN9rocsparseL12scale_kernelILj256El21rocsparse_complex_numIfES2_EEvT0_NS_24const_host_device_scalarIT2_EEPT1_b.has_dyn_sized_stack, 0
	.set _ZN9rocsparseL12scale_kernelILj256El21rocsparse_complex_numIfES2_EEvT0_NS_24const_host_device_scalarIT2_EEPT1_b.has_recursion, 0
	.set _ZN9rocsparseL12scale_kernelILj256El21rocsparse_complex_numIfES2_EEvT0_NS_24const_host_device_scalarIT2_EEPT1_b.has_indirect_call, 0
	.section	.AMDGPU.csdata,"",@progbits
; Kernel info:
; codeLenInByte = 232
; TotalNumSgprs: 16
; NumVgprs: 9
; ScratchSize: 0
; MemoryBound: 0
; FloatMode: 240
; IeeeMode: 1
; LDSByteSize: 0 bytes/workgroup (compile time only)
; SGPRBlocks: 1
; VGPRBlocks: 2
; NumSGPRsForWavesPerEU: 16
; NumVGPRsForWavesPerEU: 9
; Occupancy: 10
; WaveLimiterHint : 0
; COMPUTE_PGM_RSRC2:SCRATCH_EN: 0
; COMPUTE_PGM_RSRC2:USER_SGPR: 6
; COMPUTE_PGM_RSRC2:TRAP_HANDLER: 0
; COMPUTE_PGM_RSRC2:TGID_X_EN: 1
; COMPUTE_PGM_RSRC2:TGID_Y_EN: 0
; COMPUTE_PGM_RSRC2:TGID_Z_EN: 0
; COMPUTE_PGM_RSRC2:TIDIG_COMP_CNT: 0
	.section	.text._ZN9rocsparseL12scale_kernelILj256El21rocsparse_complex_numIdES2_EEvT0_NS_24const_host_device_scalarIT2_EEPT1_b,"axG",@progbits,_ZN9rocsparseL12scale_kernelILj256El21rocsparse_complex_numIdES2_EEvT0_NS_24const_host_device_scalarIT2_EEPT1_b,comdat
	.globl	_ZN9rocsparseL12scale_kernelILj256El21rocsparse_complex_numIdES2_EEvT0_NS_24const_host_device_scalarIT2_EEPT1_b ; -- Begin function _ZN9rocsparseL12scale_kernelILj256El21rocsparse_complex_numIdES2_EEvT0_NS_24const_host_device_scalarIT2_EEPT1_b
	.p2align	8
	.type	_ZN9rocsparseL12scale_kernelILj256El21rocsparse_complex_numIdES2_EEvT0_NS_24const_host_device_scalarIT2_EEPT1_b,@function
_ZN9rocsparseL12scale_kernelILj256El21rocsparse_complex_numIdES2_EEvT0_NS_24const_host_device_scalarIT2_EEPT1_b: ; @_ZN9rocsparseL12scale_kernelILj256El21rocsparse_complex_numIdES2_EEvT0_NS_24const_host_device_scalarIT2_EEPT1_b
; %bb.0:
	s_load_dword s0, s[4:5], 0x20
	s_load_dwordx4 s[8:11], s[4:5], 0x0
	s_or_b32 s1, s4, 8
	s_waitcnt lgkmcnt(0)
	s_bitcmp1_b32 s0, 0
	s_cselect_b32 s0, s5, s11
	s_cselect_b32 s1, s1, s10
	v_mov_b32_e32 v1, s1
	v_mov_b32_e32 v2, s0
	flat_load_dwordx4 v[1:4], v[1:2]
	s_waitcnt vmcnt(0) lgkmcnt(0)
	v_cmp_neq_f64_e32 vcc, 1.0, v[1:2]
	v_cmp_neq_f64_e64 s[0:1], 0, v[3:4]
	s_or_b64 s[0:1], vcc, s[0:1]
	s_and_saveexec_b64 s[2:3], s[0:1]
	s_cbranch_execz .LBB61_5
; %bb.1:
	v_lshl_or_b32 v7, s6, 8, v0
	v_mov_b32_e32 v8, 0
	v_cmp_gt_i64_e32 vcc, s[8:9], v[7:8]
	s_and_b64 exec, exec, vcc
	s_cbranch_execz .LBB61_5
; %bb.2:
	v_cmp_neq_f64_e32 vcc, 0, v[1:2]
	v_cmp_neq_f64_e64 s[0:1], 0, v[3:4]
	s_load_dwordx2 s[2:3], s[4:5], 0x18
	v_lshlrev_b64 v[9:10], 4, v[7:8]
	v_mov_b32_e32 v5, 0
	v_mov_b32_e32 v7, 0
	;; [unrolled: 1-line block ×3, first 2 shown]
	s_waitcnt lgkmcnt(0)
	v_mov_b32_e32 v0, s3
	v_mov_b32_e32 v8, 0
	s_or_b64 s[4:5], vcc, s[0:1]
	v_add_co_u32_e32 v9, vcc, s2, v9
	v_addc_co_u32_e32 v10, vcc, v0, v10, vcc
	s_and_saveexec_b64 s[0:1], s[4:5]
	s_cbranch_execz .LBB61_4
; %bb.3:
	global_load_dwordx4 v[5:8], v[9:10], off
	s_waitcnt vmcnt(0)
	v_mul_f64 v[11:12], v[3:4], -v[7:8]
	v_mul_f64 v[3:4], v[3:4], v[5:6]
	v_fma_f64 v[5:6], v[5:6], v[1:2], v[11:12]
	v_fma_f64 v[7:8], v[7:8], v[1:2], v[3:4]
.LBB61_4:
	s_or_b64 exec, exec, s[0:1]
	global_store_dwordx4 v[9:10], v[5:8], off
.LBB61_5:
	s_endpgm
	.section	.rodata,"a",@progbits
	.p2align	6, 0x0
	.amdhsa_kernel _ZN9rocsparseL12scale_kernelILj256El21rocsparse_complex_numIdES2_EEvT0_NS_24const_host_device_scalarIT2_EEPT1_b
		.amdhsa_group_segment_fixed_size 0
		.amdhsa_private_segment_fixed_size 0
		.amdhsa_kernarg_size 36
		.amdhsa_user_sgpr_count 6
		.amdhsa_user_sgpr_private_segment_buffer 1
		.amdhsa_user_sgpr_dispatch_ptr 0
		.amdhsa_user_sgpr_queue_ptr 0
		.amdhsa_user_sgpr_kernarg_segment_ptr 1
		.amdhsa_user_sgpr_dispatch_id 0
		.amdhsa_user_sgpr_flat_scratch_init 0
		.amdhsa_user_sgpr_private_segment_size 0
		.amdhsa_uses_dynamic_stack 0
		.amdhsa_system_sgpr_private_segment_wavefront_offset 0
		.amdhsa_system_sgpr_workgroup_id_x 1
		.amdhsa_system_sgpr_workgroup_id_y 0
		.amdhsa_system_sgpr_workgroup_id_z 0
		.amdhsa_system_sgpr_workgroup_info 0
		.amdhsa_system_vgpr_workitem_id 0
		.amdhsa_next_free_vgpr 13
		.amdhsa_next_free_sgpr 12
		.amdhsa_reserve_vcc 1
		.amdhsa_reserve_flat_scratch 0
		.amdhsa_float_round_mode_32 0
		.amdhsa_float_round_mode_16_64 0
		.amdhsa_float_denorm_mode_32 3
		.amdhsa_float_denorm_mode_16_64 3
		.amdhsa_dx10_clamp 1
		.amdhsa_ieee_mode 1
		.amdhsa_fp16_overflow 0
		.amdhsa_exception_fp_ieee_invalid_op 0
		.amdhsa_exception_fp_denorm_src 0
		.amdhsa_exception_fp_ieee_div_zero 0
		.amdhsa_exception_fp_ieee_overflow 0
		.amdhsa_exception_fp_ieee_underflow 0
		.amdhsa_exception_fp_ieee_inexact 0
		.amdhsa_exception_int_div_zero 0
	.end_amdhsa_kernel
	.section	.text._ZN9rocsparseL12scale_kernelILj256El21rocsparse_complex_numIdES2_EEvT0_NS_24const_host_device_scalarIT2_EEPT1_b,"axG",@progbits,_ZN9rocsparseL12scale_kernelILj256El21rocsparse_complex_numIdES2_EEvT0_NS_24const_host_device_scalarIT2_EEPT1_b,comdat
.Lfunc_end61:
	.size	_ZN9rocsparseL12scale_kernelILj256El21rocsparse_complex_numIdES2_EEvT0_NS_24const_host_device_scalarIT2_EEPT1_b, .Lfunc_end61-_ZN9rocsparseL12scale_kernelILj256El21rocsparse_complex_numIdES2_EEvT0_NS_24const_host_device_scalarIT2_EEPT1_b
                                        ; -- End function
	.set _ZN9rocsparseL12scale_kernelILj256El21rocsparse_complex_numIdES2_EEvT0_NS_24const_host_device_scalarIT2_EEPT1_b.num_vgpr, 13
	.set _ZN9rocsparseL12scale_kernelILj256El21rocsparse_complex_numIdES2_EEvT0_NS_24const_host_device_scalarIT2_EEPT1_b.num_agpr, 0
	.set _ZN9rocsparseL12scale_kernelILj256El21rocsparse_complex_numIdES2_EEvT0_NS_24const_host_device_scalarIT2_EEPT1_b.numbered_sgpr, 12
	.set _ZN9rocsparseL12scale_kernelILj256El21rocsparse_complex_numIdES2_EEvT0_NS_24const_host_device_scalarIT2_EEPT1_b.num_named_barrier, 0
	.set _ZN9rocsparseL12scale_kernelILj256El21rocsparse_complex_numIdES2_EEvT0_NS_24const_host_device_scalarIT2_EEPT1_b.private_seg_size, 0
	.set _ZN9rocsparseL12scale_kernelILj256El21rocsparse_complex_numIdES2_EEvT0_NS_24const_host_device_scalarIT2_EEPT1_b.uses_vcc, 1
	.set _ZN9rocsparseL12scale_kernelILj256El21rocsparse_complex_numIdES2_EEvT0_NS_24const_host_device_scalarIT2_EEPT1_b.uses_flat_scratch, 0
	.set _ZN9rocsparseL12scale_kernelILj256El21rocsparse_complex_numIdES2_EEvT0_NS_24const_host_device_scalarIT2_EEPT1_b.has_dyn_sized_stack, 0
	.set _ZN9rocsparseL12scale_kernelILj256El21rocsparse_complex_numIdES2_EEvT0_NS_24const_host_device_scalarIT2_EEPT1_b.has_recursion, 0
	.set _ZN9rocsparseL12scale_kernelILj256El21rocsparse_complex_numIdES2_EEvT0_NS_24const_host_device_scalarIT2_EEPT1_b.has_indirect_call, 0
	.section	.AMDGPU.csdata,"",@progbits
; Kernel info:
; codeLenInByte = 236
; TotalNumSgprs: 16
; NumVgprs: 13
; ScratchSize: 0
; MemoryBound: 0
; FloatMode: 240
; IeeeMode: 1
; LDSByteSize: 0 bytes/workgroup (compile time only)
; SGPRBlocks: 1
; VGPRBlocks: 3
; NumSGPRsForWavesPerEU: 16
; NumVGPRsForWavesPerEU: 13
; Occupancy: 10
; WaveLimiterHint : 0
; COMPUTE_PGM_RSRC2:SCRATCH_EN: 0
; COMPUTE_PGM_RSRC2:USER_SGPR: 6
; COMPUTE_PGM_RSRC2:TRAP_HANDLER: 0
; COMPUTE_PGM_RSRC2:TGID_X_EN: 1
; COMPUTE_PGM_RSRC2:TGID_Y_EN: 0
; COMPUTE_PGM_RSRC2:TGID_Z_EN: 0
; COMPUTE_PGM_RSRC2:TIDIG_COMP_CNT: 0
	.section	.text._ZN9rocsparseL15scale_2d_kernelILj256EiDF16_EEvT0_S1_llNS_24const_host_device_scalarIT1_EEPS3_16rocsparse_order_b,"axG",@progbits,_ZN9rocsparseL15scale_2d_kernelILj256EiDF16_EEvT0_S1_llNS_24const_host_device_scalarIT1_EEPS3_16rocsparse_order_b,comdat
	.globl	_ZN9rocsparseL15scale_2d_kernelILj256EiDF16_EEvT0_S1_llNS_24const_host_device_scalarIT1_EEPS3_16rocsparse_order_b ; -- Begin function _ZN9rocsparseL15scale_2d_kernelILj256EiDF16_EEvT0_S1_llNS_24const_host_device_scalarIT1_EEPS3_16rocsparse_order_b
	.p2align	8
	.type	_ZN9rocsparseL15scale_2d_kernelILj256EiDF16_EEvT0_S1_llNS_24const_host_device_scalarIT1_EEPS3_16rocsparse_order_b,@function
_ZN9rocsparseL15scale_2d_kernelILj256EiDF16_EEvT0_S1_llNS_24const_host_device_scalarIT1_EEPS3_16rocsparse_order_b: ; @_ZN9rocsparseL15scale_2d_kernelILj256EiDF16_EEvT0_S1_llNS_24const_host_device_scalarIT1_EEPS3_16rocsparse_order_b
; %bb.0:
	s_load_dwordx2 s[0:1], s[4:5], 0x28
	s_load_dwordx2 s[2:3], s[4:5], 0x18
	s_waitcnt lgkmcnt(0)
	s_bitcmp1_b32 s1, 0
	s_cselect_b64 s[8:9], -1, 0
	s_and_b64 vcc, exec, s[8:9]
	v_mov_b32_e32 v2, s2
	s_cbranch_vccnz .LBB62_2
; %bb.1:
	v_mov_b32_e32 v1, 0
	global_load_ushort v2, v1, s[2:3]
.LBB62_2:
	s_waitcnt vmcnt(0)
	v_cmp_eq_f16_e32 vcc, 1.0, v2
	s_cbranch_vccnz .LBB62_7
; %bb.3:
	s_load_dwordx2 s[2:3], s[4:5], 0x0
	v_lshl_or_b32 v0, s6, 8, v0
	s_waitcnt lgkmcnt(0)
	s_mul_i32 s1, s3, s2
	v_cmp_gt_i32_e32 vcc, s1, v0
	s_and_saveexec_b64 s[8:9], vcc
	s_cbranch_execz .LBB62_7
; %bb.4:
	s_cmp_eq_u32 s0, 1
	s_cselect_b32 s6, s2, s3
	s_abs_i32 s12, s6
	v_cvt_f32_u32_e32 v1, s12
	s_sub_i32 s0, 0, s12
	v_sub_u32_e32 v4, 0, v0
	v_max_i32_e32 v4, v0, v4
	v_rcp_iflag_f32_e32 v1, v1
	s_load_dwordx4 s[8:11], s[4:5], 0x8
	s_load_dwordx2 s[2:3], s[4:5], 0x20
	v_cmp_eq_f16_e32 vcc, 0, v2
	s_and_b64 vcc, exec, vcc
	v_mul_f32_e32 v1, 0x4f7ffffe, v1
	v_cvt_u32_f32_e32 v1, v1
	s_waitcnt lgkmcnt(0)
	s_mul_hi_u32 s4, s10, s7
	v_mul_lo_u32 v3, s0, v1
	s_ashr_i32 s0, s7, 31
	s_mul_i32 s5, s10, s0
	v_mul_hi_u32 v5, v1, v3
	v_mov_b32_e32 v3, 0
	v_add_u32_e32 v1, v1, v5
	v_mul_hi_u32 v1, v4, v1
	v_xor_b32_e32 v5, s6, v0
	v_ashrrev_i32_e32 v5, 31, v5
	v_mul_lo_u32 v6, v1, s12
	v_add_u32_e32 v7, 1, v1
	v_sub_u32_e32 v4, v4, v6
	v_cmp_le_u32_e64 s[0:1], s12, v4
	v_subrev_u32_e32 v6, s12, v4
	v_cndmask_b32_e64 v1, v1, v7, s[0:1]
	v_cndmask_b32_e64 v4, v4, v6, s[0:1]
	v_add_u32_e32 v6, 1, v1
	v_cmp_le_u32_e64 s[0:1], s12, v4
	v_cndmask_b32_e64 v1, v1, v6, s[0:1]
	v_xor_b32_e32 v1, v1, v5
	v_sub_u32_e32 v1, v1, v5
	v_ashrrev_i32_e32 v7, 31, v1
	v_mul_lo_u32 v8, s9, v1
	v_mad_u64_u32 v[4:5], s[0:1], s8, v1, 0
	v_mul_lo_u32 v7, s8, v7
	v_mul_lo_u32 v6, v1, s6
	s_add_i32 s0, s4, s5
	s_mul_i32 s1, s11, s7
	v_add3_u32 v5, v5, v7, v8
	v_sub_u32_e32 v0, v0, v6
	v_lshlrev_b64 v[4:5], 1, v[4:5]
	v_ashrrev_i32_e32 v1, 31, v0
	s_add_i32 s5, s0, s1
	v_mov_b32_e32 v6, s3
	v_add_co_u32_e64 v4, s[0:1], s2, v4
	v_lshlrev_b64 v[0:1], 1, v[0:1]
	v_addc_co_u32_e64 v5, s[0:1], v6, v5, s[0:1]
	v_add_co_u32_e64 v0, s[0:1], v4, v0
	s_mul_i32 s4, s10, s7
	v_addc_co_u32_e64 v1, s[0:1], v5, v1, s[0:1]
	s_lshl_b64 s[0:1], s[4:5], 1
	v_mov_b32_e32 v4, s1
	v_add_co_u32_e64 v0, s[0:1], s0, v0
	v_addc_co_u32_e64 v1, s[0:1], v1, v4, s[0:1]
	s_cbranch_vccnz .LBB62_6
; %bb.5:
	global_load_ushort v3, v[0:1], off
	s_waitcnt vmcnt(0)
	v_mul_f16_e32 v3, v2, v3
.LBB62_6:
	global_store_short v[0:1], v3, off
.LBB62_7:
	s_endpgm
	.section	.rodata,"a",@progbits
	.p2align	6, 0x0
	.amdhsa_kernel _ZN9rocsparseL15scale_2d_kernelILj256EiDF16_EEvT0_S1_llNS_24const_host_device_scalarIT1_EEPS3_16rocsparse_order_b
		.amdhsa_group_segment_fixed_size 0
		.amdhsa_private_segment_fixed_size 0
		.amdhsa_kernarg_size 48
		.amdhsa_user_sgpr_count 6
		.amdhsa_user_sgpr_private_segment_buffer 1
		.amdhsa_user_sgpr_dispatch_ptr 0
		.amdhsa_user_sgpr_queue_ptr 0
		.amdhsa_user_sgpr_kernarg_segment_ptr 1
		.amdhsa_user_sgpr_dispatch_id 0
		.amdhsa_user_sgpr_flat_scratch_init 0
		.amdhsa_user_sgpr_private_segment_size 0
		.amdhsa_uses_dynamic_stack 0
		.amdhsa_system_sgpr_private_segment_wavefront_offset 0
		.amdhsa_system_sgpr_workgroup_id_x 1
		.amdhsa_system_sgpr_workgroup_id_y 1
		.amdhsa_system_sgpr_workgroup_id_z 0
		.amdhsa_system_sgpr_workgroup_info 0
		.amdhsa_system_vgpr_workitem_id 0
		.amdhsa_next_free_vgpr 9
		.amdhsa_next_free_sgpr 13
		.amdhsa_reserve_vcc 1
		.amdhsa_reserve_flat_scratch 0
		.amdhsa_float_round_mode_32 0
		.amdhsa_float_round_mode_16_64 0
		.amdhsa_float_denorm_mode_32 3
		.amdhsa_float_denorm_mode_16_64 3
		.amdhsa_dx10_clamp 1
		.amdhsa_ieee_mode 1
		.amdhsa_fp16_overflow 0
		.amdhsa_exception_fp_ieee_invalid_op 0
		.amdhsa_exception_fp_denorm_src 0
		.amdhsa_exception_fp_ieee_div_zero 0
		.amdhsa_exception_fp_ieee_overflow 0
		.amdhsa_exception_fp_ieee_underflow 0
		.amdhsa_exception_fp_ieee_inexact 0
		.amdhsa_exception_int_div_zero 0
	.end_amdhsa_kernel
	.section	.text._ZN9rocsparseL15scale_2d_kernelILj256EiDF16_EEvT0_S1_llNS_24const_host_device_scalarIT1_EEPS3_16rocsparse_order_b,"axG",@progbits,_ZN9rocsparseL15scale_2d_kernelILj256EiDF16_EEvT0_S1_llNS_24const_host_device_scalarIT1_EEPS3_16rocsparse_order_b,comdat
.Lfunc_end62:
	.size	_ZN9rocsparseL15scale_2d_kernelILj256EiDF16_EEvT0_S1_llNS_24const_host_device_scalarIT1_EEPS3_16rocsparse_order_b, .Lfunc_end62-_ZN9rocsparseL15scale_2d_kernelILj256EiDF16_EEvT0_S1_llNS_24const_host_device_scalarIT1_EEPS3_16rocsparse_order_b
                                        ; -- End function
	.set _ZN9rocsparseL15scale_2d_kernelILj256EiDF16_EEvT0_S1_llNS_24const_host_device_scalarIT1_EEPS3_16rocsparse_order_b.num_vgpr, 9
	.set _ZN9rocsparseL15scale_2d_kernelILj256EiDF16_EEvT0_S1_llNS_24const_host_device_scalarIT1_EEPS3_16rocsparse_order_b.num_agpr, 0
	.set _ZN9rocsparseL15scale_2d_kernelILj256EiDF16_EEvT0_S1_llNS_24const_host_device_scalarIT1_EEPS3_16rocsparse_order_b.numbered_sgpr, 13
	.set _ZN9rocsparseL15scale_2d_kernelILj256EiDF16_EEvT0_S1_llNS_24const_host_device_scalarIT1_EEPS3_16rocsparse_order_b.num_named_barrier, 0
	.set _ZN9rocsparseL15scale_2d_kernelILj256EiDF16_EEvT0_S1_llNS_24const_host_device_scalarIT1_EEPS3_16rocsparse_order_b.private_seg_size, 0
	.set _ZN9rocsparseL15scale_2d_kernelILj256EiDF16_EEvT0_S1_llNS_24const_host_device_scalarIT1_EEPS3_16rocsparse_order_b.uses_vcc, 1
	.set _ZN9rocsparseL15scale_2d_kernelILj256EiDF16_EEvT0_S1_llNS_24const_host_device_scalarIT1_EEPS3_16rocsparse_order_b.uses_flat_scratch, 0
	.set _ZN9rocsparseL15scale_2d_kernelILj256EiDF16_EEvT0_S1_llNS_24const_host_device_scalarIT1_EEPS3_16rocsparse_order_b.has_dyn_sized_stack, 0
	.set _ZN9rocsparseL15scale_2d_kernelILj256EiDF16_EEvT0_S1_llNS_24const_host_device_scalarIT1_EEPS3_16rocsparse_order_b.has_recursion, 0
	.set _ZN9rocsparseL15scale_2d_kernelILj256EiDF16_EEvT0_S1_llNS_24const_host_device_scalarIT1_EEPS3_16rocsparse_order_b.has_indirect_call, 0
	.section	.AMDGPU.csdata,"",@progbits
; Kernel info:
; codeLenInByte = 472
; TotalNumSgprs: 17
; NumVgprs: 9
; ScratchSize: 0
; MemoryBound: 0
; FloatMode: 240
; IeeeMode: 1
; LDSByteSize: 0 bytes/workgroup (compile time only)
; SGPRBlocks: 2
; VGPRBlocks: 2
; NumSGPRsForWavesPerEU: 17
; NumVGPRsForWavesPerEU: 9
; Occupancy: 10
; WaveLimiterHint : 0
; COMPUTE_PGM_RSRC2:SCRATCH_EN: 0
; COMPUTE_PGM_RSRC2:USER_SGPR: 6
; COMPUTE_PGM_RSRC2:TRAP_HANDLER: 0
; COMPUTE_PGM_RSRC2:TGID_X_EN: 1
; COMPUTE_PGM_RSRC2:TGID_Y_EN: 1
; COMPUTE_PGM_RSRC2:TGID_Z_EN: 0
; COMPUTE_PGM_RSRC2:TIDIG_COMP_CNT: 0
	.section	.text._ZN9rocsparseL15scale_2d_kernelILj256EiiEEvT0_S1_llNS_24const_host_device_scalarIT1_EEPS3_16rocsparse_order_b,"axG",@progbits,_ZN9rocsparseL15scale_2d_kernelILj256EiiEEvT0_S1_llNS_24const_host_device_scalarIT1_EEPS3_16rocsparse_order_b,comdat
	.globl	_ZN9rocsparseL15scale_2d_kernelILj256EiiEEvT0_S1_llNS_24const_host_device_scalarIT1_EEPS3_16rocsparse_order_b ; -- Begin function _ZN9rocsparseL15scale_2d_kernelILj256EiiEEvT0_S1_llNS_24const_host_device_scalarIT1_EEPS3_16rocsparse_order_b
	.p2align	8
	.type	_ZN9rocsparseL15scale_2d_kernelILj256EiiEEvT0_S1_llNS_24const_host_device_scalarIT1_EEPS3_16rocsparse_order_b,@function
_ZN9rocsparseL15scale_2d_kernelILj256EiiEEvT0_S1_llNS_24const_host_device_scalarIT1_EEPS3_16rocsparse_order_b: ; @_ZN9rocsparseL15scale_2d_kernelILj256EiiEEvT0_S1_llNS_24const_host_device_scalarIT1_EEPS3_16rocsparse_order_b
; %bb.0:
	s_load_dwordx2 s[0:1], s[4:5], 0x28
	s_load_dwordx2 s[2:3], s[4:5], 0x18
	s_waitcnt lgkmcnt(0)
	s_bitcmp0_b32 s1, 0
	s_cbranch_scc0 .LBB63_2
; %bb.1:
	s_load_dword s10, s[2:3], 0x0
	s_cbranch_execz .LBB63_3
	s_branch .LBB63_4
.LBB63_2:
                                        ; implicit-def: $sgpr10
.LBB63_3:
	s_waitcnt lgkmcnt(0)
	s_mov_b32 s10, s2
.LBB63_4:
	s_waitcnt lgkmcnt(0)
	s_cmp_eq_u32 s10, 1
	s_cbranch_scc1 .LBB63_10
; %bb.5:
	s_load_dwordx2 s[2:3], s[4:5], 0x0
	v_lshl_or_b32 v0, s6, 8, v0
	s_waitcnt lgkmcnt(0)
	s_mul_i32 s1, s3, s2
	v_cmp_gt_i32_e32 vcc, s1, v0
	s_and_saveexec_b64 s[8:9], vcc
	s_cbranch_execz .LBB63_10
; %bb.6:
	s_cmp_eq_u32 s0, 1
	s_cselect_b32 s6, s2, s3
	s_abs_i32 s11, s6
	v_cvt_f32_u32_e32 v1, s11
	s_load_dwordx4 s[0:3], s[4:5], 0x8
	s_load_dwordx2 s[8:9], s[4:5], 0x20
	s_sub_i32 s4, 0, s11
	v_sub_u32_e32 v3, 0, v0
	v_rcp_iflag_f32_e32 v1, v1
	v_max_i32_e32 v3, v0, v3
	v_xor_b32_e32 v4, s6, v0
	v_ashrrev_i32_e32 v4, 31, v4
	v_mul_f32_e32 v1, 0x4f7ffffe, v1
	v_cvt_u32_f32_e32 v1, v1
	s_waitcnt lgkmcnt(0)
	s_mul_hi_u32 s5, s2, s7
	s_mul_i32 s3, s3, s7
	v_mul_lo_u32 v2, s4, v1
	s_ashr_i32 s4, s7, 31
	s_mul_i32 s4, s2, s4
	s_add_i32 s4, s5, s4
	v_mul_hi_u32 v2, v1, v2
	s_add_i32 s3, s4, s3
	s_mul_i32 s2, s2, s7
	v_add_u32_e32 v1, v1, v2
	v_mul_hi_u32 v1, v3, v1
	v_mul_lo_u32 v2, v1, s11
	v_add_u32_e32 v5, 1, v1
	v_sub_u32_e32 v2, v3, v2
	v_cmp_le_u32_e32 vcc, s11, v2
	v_subrev_u32_e32 v3, s11, v2
	v_cndmask_b32_e32 v1, v1, v5, vcc
	v_cndmask_b32_e32 v2, v2, v3, vcc
	v_add_u32_e32 v3, 1, v1
	v_cmp_le_u32_e32 vcc, s11, v2
	v_cndmask_b32_e32 v1, v1, v3, vcc
	v_xor_b32_e32 v1, v1, v4
	v_sub_u32_e32 v1, v1, v4
	v_ashrrev_i32_e32 v4, 31, v1
	v_mul_lo_u32 v3, v1, s6
	v_mul_lo_u32 v5, s1, v1
	v_mad_u64_u32 v[1:2], s[4:5], s0, v1, 0
	v_mul_lo_u32 v6, s0, v4
	v_sub_u32_e32 v3, v0, v3
	v_ashrrev_i32_e32 v4, 31, v3
	s_lshl_b64 s[0:1], s[2:3], 2
	v_add3_u32 v2, v2, v6, v5
	v_lshlrev_b64 v[0:1], 2, v[1:2]
	v_mov_b32_e32 v2, s9
	v_add_co_u32_e32 v5, vcc, s8, v0
	v_addc_co_u32_e32 v2, vcc, v2, v1, vcc
	v_lshlrev_b64 v[0:1], 2, v[3:4]
	s_cmp_eq_u32 s10, 0
	v_add_co_u32_e32 v0, vcc, v5, v0
	v_addc_co_u32_e32 v1, vcc, v2, v1, vcc
	v_mov_b32_e32 v2, s1
	v_add_co_u32_e32 v0, vcc, s0, v0
	v_addc_co_u32_e32 v1, vcc, v1, v2, vcc
	s_cbranch_scc1 .LBB63_8
; %bb.7:
	global_load_dword v2, v[0:1], off
	s_waitcnt vmcnt(0)
	v_mul_lo_u32 v2, v2, s10
	s_branch .LBB63_9
.LBB63_8:
	v_mov_b32_e32 v2, 0
.LBB63_9:
	global_store_dword v[0:1], v2, off
.LBB63_10:
	s_endpgm
	.section	.rodata,"a",@progbits
	.p2align	6, 0x0
	.amdhsa_kernel _ZN9rocsparseL15scale_2d_kernelILj256EiiEEvT0_S1_llNS_24const_host_device_scalarIT1_EEPS3_16rocsparse_order_b
		.amdhsa_group_segment_fixed_size 0
		.amdhsa_private_segment_fixed_size 0
		.amdhsa_kernarg_size 48
		.amdhsa_user_sgpr_count 6
		.amdhsa_user_sgpr_private_segment_buffer 1
		.amdhsa_user_sgpr_dispatch_ptr 0
		.amdhsa_user_sgpr_queue_ptr 0
		.amdhsa_user_sgpr_kernarg_segment_ptr 1
		.amdhsa_user_sgpr_dispatch_id 0
		.amdhsa_user_sgpr_flat_scratch_init 0
		.amdhsa_user_sgpr_private_segment_size 0
		.amdhsa_uses_dynamic_stack 0
		.amdhsa_system_sgpr_private_segment_wavefront_offset 0
		.amdhsa_system_sgpr_workgroup_id_x 1
		.amdhsa_system_sgpr_workgroup_id_y 1
		.amdhsa_system_sgpr_workgroup_id_z 0
		.amdhsa_system_sgpr_workgroup_info 0
		.amdhsa_system_vgpr_workitem_id 0
		.amdhsa_next_free_vgpr 7
		.amdhsa_next_free_sgpr 12
		.amdhsa_reserve_vcc 1
		.amdhsa_reserve_flat_scratch 0
		.amdhsa_float_round_mode_32 0
		.amdhsa_float_round_mode_16_64 0
		.amdhsa_float_denorm_mode_32 3
		.amdhsa_float_denorm_mode_16_64 3
		.amdhsa_dx10_clamp 1
		.amdhsa_ieee_mode 1
		.amdhsa_fp16_overflow 0
		.amdhsa_exception_fp_ieee_invalid_op 0
		.amdhsa_exception_fp_denorm_src 0
		.amdhsa_exception_fp_ieee_div_zero 0
		.amdhsa_exception_fp_ieee_overflow 0
		.amdhsa_exception_fp_ieee_underflow 0
		.amdhsa_exception_fp_ieee_inexact 0
		.amdhsa_exception_int_div_zero 0
	.end_amdhsa_kernel
	.section	.text._ZN9rocsparseL15scale_2d_kernelILj256EiiEEvT0_S1_llNS_24const_host_device_scalarIT1_EEPS3_16rocsparse_order_b,"axG",@progbits,_ZN9rocsparseL15scale_2d_kernelILj256EiiEEvT0_S1_llNS_24const_host_device_scalarIT1_EEPS3_16rocsparse_order_b,comdat
.Lfunc_end63:
	.size	_ZN9rocsparseL15scale_2d_kernelILj256EiiEEvT0_S1_llNS_24const_host_device_scalarIT1_EEPS3_16rocsparse_order_b, .Lfunc_end63-_ZN9rocsparseL15scale_2d_kernelILj256EiiEEvT0_S1_llNS_24const_host_device_scalarIT1_EEPS3_16rocsparse_order_b
                                        ; -- End function
	.set _ZN9rocsparseL15scale_2d_kernelILj256EiiEEvT0_S1_llNS_24const_host_device_scalarIT1_EEPS3_16rocsparse_order_b.num_vgpr, 7
	.set _ZN9rocsparseL15scale_2d_kernelILj256EiiEEvT0_S1_llNS_24const_host_device_scalarIT1_EEPS3_16rocsparse_order_b.num_agpr, 0
	.set _ZN9rocsparseL15scale_2d_kernelILj256EiiEEvT0_S1_llNS_24const_host_device_scalarIT1_EEPS3_16rocsparse_order_b.numbered_sgpr, 12
	.set _ZN9rocsparseL15scale_2d_kernelILj256EiiEEvT0_S1_llNS_24const_host_device_scalarIT1_EEPS3_16rocsparse_order_b.num_named_barrier, 0
	.set _ZN9rocsparseL15scale_2d_kernelILj256EiiEEvT0_S1_llNS_24const_host_device_scalarIT1_EEPS3_16rocsparse_order_b.private_seg_size, 0
	.set _ZN9rocsparseL15scale_2d_kernelILj256EiiEEvT0_S1_llNS_24const_host_device_scalarIT1_EEPS3_16rocsparse_order_b.uses_vcc, 1
	.set _ZN9rocsparseL15scale_2d_kernelILj256EiiEEvT0_S1_llNS_24const_host_device_scalarIT1_EEPS3_16rocsparse_order_b.uses_flat_scratch, 0
	.set _ZN9rocsparseL15scale_2d_kernelILj256EiiEEvT0_S1_llNS_24const_host_device_scalarIT1_EEPS3_16rocsparse_order_b.has_dyn_sized_stack, 0
	.set _ZN9rocsparseL15scale_2d_kernelILj256EiiEEvT0_S1_llNS_24const_host_device_scalarIT1_EEPS3_16rocsparse_order_b.has_recursion, 0
	.set _ZN9rocsparseL15scale_2d_kernelILj256EiiEEvT0_S1_llNS_24const_host_device_scalarIT1_EEPS3_16rocsparse_order_b.has_indirect_call, 0
	.section	.AMDGPU.csdata,"",@progbits
; Kernel info:
; codeLenInByte = 432
; TotalNumSgprs: 16
; NumVgprs: 7
; ScratchSize: 0
; MemoryBound: 0
; FloatMode: 240
; IeeeMode: 1
; LDSByteSize: 0 bytes/workgroup (compile time only)
; SGPRBlocks: 1
; VGPRBlocks: 1
; NumSGPRsForWavesPerEU: 16
; NumVGPRsForWavesPerEU: 7
; Occupancy: 10
; WaveLimiterHint : 0
; COMPUTE_PGM_RSRC2:SCRATCH_EN: 0
; COMPUTE_PGM_RSRC2:USER_SGPR: 6
; COMPUTE_PGM_RSRC2:TRAP_HANDLER: 0
; COMPUTE_PGM_RSRC2:TGID_X_EN: 1
; COMPUTE_PGM_RSRC2:TGID_Y_EN: 1
; COMPUTE_PGM_RSRC2:TGID_Z_EN: 0
; COMPUTE_PGM_RSRC2:TIDIG_COMP_CNT: 0
	.section	.text._ZN9rocsparseL15scale_2d_kernelILj256EifEEvT0_S1_llNS_24const_host_device_scalarIT1_EEPS3_16rocsparse_order_b,"axG",@progbits,_ZN9rocsparseL15scale_2d_kernelILj256EifEEvT0_S1_llNS_24const_host_device_scalarIT1_EEPS3_16rocsparse_order_b,comdat
	.globl	_ZN9rocsparseL15scale_2d_kernelILj256EifEEvT0_S1_llNS_24const_host_device_scalarIT1_EEPS3_16rocsparse_order_b ; -- Begin function _ZN9rocsparseL15scale_2d_kernelILj256EifEEvT0_S1_llNS_24const_host_device_scalarIT1_EEPS3_16rocsparse_order_b
	.p2align	8
	.type	_ZN9rocsparseL15scale_2d_kernelILj256EifEEvT0_S1_llNS_24const_host_device_scalarIT1_EEPS3_16rocsparse_order_b,@function
_ZN9rocsparseL15scale_2d_kernelILj256EifEEvT0_S1_llNS_24const_host_device_scalarIT1_EEPS3_16rocsparse_order_b: ; @_ZN9rocsparseL15scale_2d_kernelILj256EifEEvT0_S1_llNS_24const_host_device_scalarIT1_EEPS3_16rocsparse_order_b
; %bb.0:
	s_load_dwordx2 s[0:1], s[4:5], 0x28
	s_load_dwordx2 s[8:9], s[4:5], 0x18
	s_waitcnt lgkmcnt(0)
	s_bitcmp1_b32 s1, 0
	s_cselect_b64 s[2:3], -1, 0
	s_and_b64 vcc, exec, s[2:3]
	s_cbranch_vccnz .LBB64_2
; %bb.1:
	s_load_dword s8, s[8:9], 0x0
.LBB64_2:
	s_waitcnt lgkmcnt(0)
	v_cmp_eq_f32_e64 s[2:3], s8, 1.0
	s_and_b64 vcc, exec, s[2:3]
	s_cbranch_vccnz .LBB64_7
; %bb.3:
	s_load_dwordx2 s[2:3], s[4:5], 0x0
	v_lshl_or_b32 v0, s6, 8, v0
	s_waitcnt lgkmcnt(0)
	s_mul_i32 s1, s3, s2
	v_cmp_gt_i32_e32 vcc, s1, v0
	s_and_saveexec_b64 s[10:11], vcc
	s_cbranch_execz .LBB64_7
; %bb.4:
	s_cmp_eq_u32 s0, 1
	s_cselect_b32 s6, s2, s3
	s_abs_i32 s9, s6
	v_cvt_f32_u32_e32 v1, s9
	s_sub_i32 s0, 0, s9
	v_sub_u32_e32 v3, 0, v0
	v_max_i32_e32 v3, v0, v3
	v_rcp_iflag_f32_e32 v1, v1
	s_ashr_i32 s12, s7, 31
	v_mul_f32_e32 v1, 0x4f7ffffe, v1
	v_cvt_u32_f32_e32 v1, v1
	v_mul_lo_u32 v2, s0, v1
	s_load_dwordx4 s[0:3], s[4:5], 0x8
	s_load_dwordx2 s[10:11], s[4:5], 0x20
	v_cmp_eq_f32_e64 s[4:5], s8, 0
	v_mul_hi_u32 v4, v1, v2
	s_waitcnt lgkmcnt(0)
	s_mul_i32 s15, s2, s12
	s_mul_hi_u32 s14, s2, s7
	v_mov_b32_e32 v2, 0
	v_add_u32_e32 v1, v1, v4
	v_mul_hi_u32 v1, v3, v1
	v_xor_b32_e32 v4, s6, v0
	v_ashrrev_i32_e32 v4, 31, v4
	v_mul_lo_u32 v5, v1, s9
	v_add_u32_e32 v6, 1, v1
	v_sub_u32_e32 v3, v3, v5
	v_cmp_le_u32_e32 vcc, s9, v3
	v_subrev_u32_e32 v5, s9, v3
	v_cndmask_b32_e32 v1, v1, v6, vcc
	v_cndmask_b32_e32 v3, v3, v5, vcc
	v_add_u32_e32 v5, 1, v1
	v_cmp_le_u32_e32 vcc, s9, v3
	v_cndmask_b32_e32 v1, v1, v5, vcc
	v_xor_b32_e32 v1, v1, v4
	v_sub_u32_e32 v1, v1, v4
	v_ashrrev_i32_e32 v6, 31, v1
	v_mul_lo_u32 v7, s1, v1
	v_mad_u64_u32 v[3:4], s[12:13], s0, v1, 0
	v_mul_lo_u32 v6, s0, v6
	v_mul_lo_u32 v5, v1, s6
	s_add_i32 s0, s14, s15
	s_mul_i32 s1, s3, s7
	v_add3_u32 v4, v4, v6, v7
	v_sub_u32_e32 v0, v0, v5
	v_lshlrev_b64 v[3:4], 2, v[3:4]
	v_ashrrev_i32_e32 v1, 31, v0
	v_mov_b32_e32 v5, s11
	v_add_co_u32_e32 v3, vcc, s10, v3
	v_lshlrev_b64 v[0:1], 2, v[0:1]
	v_addc_co_u32_e32 v4, vcc, v5, v4, vcc
	s_add_i32 s1, s0, s1
	s_mul_i32 s0, s2, s7
	v_add_co_u32_e32 v0, vcc, v3, v0
	v_addc_co_u32_e32 v1, vcc, v4, v1, vcc
	s_lshl_b64 s[0:1], s[0:1], 2
	v_mov_b32_e32 v3, s1
	v_add_co_u32_e32 v0, vcc, s0, v0
	v_addc_co_u32_e32 v1, vcc, v1, v3, vcc
	s_and_b64 vcc, exec, s[4:5]
	s_cbranch_vccnz .LBB64_6
; %bb.5:
	global_load_dword v2, v[0:1], off
	s_waitcnt vmcnt(0)
	v_mul_f32_e32 v2, s8, v2
.LBB64_6:
	global_store_dword v[0:1], v2, off
.LBB64_7:
	s_endpgm
	.section	.rodata,"a",@progbits
	.p2align	6, 0x0
	.amdhsa_kernel _ZN9rocsparseL15scale_2d_kernelILj256EifEEvT0_S1_llNS_24const_host_device_scalarIT1_EEPS3_16rocsparse_order_b
		.amdhsa_group_segment_fixed_size 0
		.amdhsa_private_segment_fixed_size 0
		.amdhsa_kernarg_size 48
		.amdhsa_user_sgpr_count 6
		.amdhsa_user_sgpr_private_segment_buffer 1
		.amdhsa_user_sgpr_dispatch_ptr 0
		.amdhsa_user_sgpr_queue_ptr 0
		.amdhsa_user_sgpr_kernarg_segment_ptr 1
		.amdhsa_user_sgpr_dispatch_id 0
		.amdhsa_user_sgpr_flat_scratch_init 0
		.amdhsa_user_sgpr_private_segment_size 0
		.amdhsa_uses_dynamic_stack 0
		.amdhsa_system_sgpr_private_segment_wavefront_offset 0
		.amdhsa_system_sgpr_workgroup_id_x 1
		.amdhsa_system_sgpr_workgroup_id_y 1
		.amdhsa_system_sgpr_workgroup_id_z 0
		.amdhsa_system_sgpr_workgroup_info 0
		.amdhsa_system_vgpr_workitem_id 0
		.amdhsa_next_free_vgpr 8
		.amdhsa_next_free_sgpr 16
		.amdhsa_reserve_vcc 1
		.amdhsa_reserve_flat_scratch 0
		.amdhsa_float_round_mode_32 0
		.amdhsa_float_round_mode_16_64 0
		.amdhsa_float_denorm_mode_32 3
		.amdhsa_float_denorm_mode_16_64 3
		.amdhsa_dx10_clamp 1
		.amdhsa_ieee_mode 1
		.amdhsa_fp16_overflow 0
		.amdhsa_exception_fp_ieee_invalid_op 0
		.amdhsa_exception_fp_denorm_src 0
		.amdhsa_exception_fp_ieee_div_zero 0
		.amdhsa_exception_fp_ieee_overflow 0
		.amdhsa_exception_fp_ieee_underflow 0
		.amdhsa_exception_fp_ieee_inexact 0
		.amdhsa_exception_int_div_zero 0
	.end_amdhsa_kernel
	.section	.text._ZN9rocsparseL15scale_2d_kernelILj256EifEEvT0_S1_llNS_24const_host_device_scalarIT1_EEPS3_16rocsparse_order_b,"axG",@progbits,_ZN9rocsparseL15scale_2d_kernelILj256EifEEvT0_S1_llNS_24const_host_device_scalarIT1_EEPS3_16rocsparse_order_b,comdat
.Lfunc_end64:
	.size	_ZN9rocsparseL15scale_2d_kernelILj256EifEEvT0_S1_llNS_24const_host_device_scalarIT1_EEPS3_16rocsparse_order_b, .Lfunc_end64-_ZN9rocsparseL15scale_2d_kernelILj256EifEEvT0_S1_llNS_24const_host_device_scalarIT1_EEPS3_16rocsparse_order_b
                                        ; -- End function
	.set _ZN9rocsparseL15scale_2d_kernelILj256EifEEvT0_S1_llNS_24const_host_device_scalarIT1_EEPS3_16rocsparse_order_b.num_vgpr, 8
	.set _ZN9rocsparseL15scale_2d_kernelILj256EifEEvT0_S1_llNS_24const_host_device_scalarIT1_EEPS3_16rocsparse_order_b.num_agpr, 0
	.set _ZN9rocsparseL15scale_2d_kernelILj256EifEEvT0_S1_llNS_24const_host_device_scalarIT1_EEPS3_16rocsparse_order_b.numbered_sgpr, 16
	.set _ZN9rocsparseL15scale_2d_kernelILj256EifEEvT0_S1_llNS_24const_host_device_scalarIT1_EEPS3_16rocsparse_order_b.num_named_barrier, 0
	.set _ZN9rocsparseL15scale_2d_kernelILj256EifEEvT0_S1_llNS_24const_host_device_scalarIT1_EEPS3_16rocsparse_order_b.private_seg_size, 0
	.set _ZN9rocsparseL15scale_2d_kernelILj256EifEEvT0_S1_llNS_24const_host_device_scalarIT1_EEPS3_16rocsparse_order_b.uses_vcc, 1
	.set _ZN9rocsparseL15scale_2d_kernelILj256EifEEvT0_S1_llNS_24const_host_device_scalarIT1_EEPS3_16rocsparse_order_b.uses_flat_scratch, 0
	.set _ZN9rocsparseL15scale_2d_kernelILj256EifEEvT0_S1_llNS_24const_host_device_scalarIT1_EEPS3_16rocsparse_order_b.has_dyn_sized_stack, 0
	.set _ZN9rocsparseL15scale_2d_kernelILj256EifEEvT0_S1_llNS_24const_host_device_scalarIT1_EEPS3_16rocsparse_order_b.has_recursion, 0
	.set _ZN9rocsparseL15scale_2d_kernelILj256EifEEvT0_S1_llNS_24const_host_device_scalarIT1_EEPS3_16rocsparse_order_b.has_indirect_call, 0
	.section	.AMDGPU.csdata,"",@progbits
; Kernel info:
; codeLenInByte = 432
; TotalNumSgprs: 20
; NumVgprs: 8
; ScratchSize: 0
; MemoryBound: 0
; FloatMode: 240
; IeeeMode: 1
; LDSByteSize: 0 bytes/workgroup (compile time only)
; SGPRBlocks: 2
; VGPRBlocks: 1
; NumSGPRsForWavesPerEU: 20
; NumVGPRsForWavesPerEU: 8
; Occupancy: 10
; WaveLimiterHint : 0
; COMPUTE_PGM_RSRC2:SCRATCH_EN: 0
; COMPUTE_PGM_RSRC2:USER_SGPR: 6
; COMPUTE_PGM_RSRC2:TRAP_HANDLER: 0
; COMPUTE_PGM_RSRC2:TGID_X_EN: 1
; COMPUTE_PGM_RSRC2:TGID_Y_EN: 1
; COMPUTE_PGM_RSRC2:TGID_Z_EN: 0
; COMPUTE_PGM_RSRC2:TIDIG_COMP_CNT: 0
	.section	.text._ZN9rocsparseL15scale_2d_kernelILj256EidEEvT0_S1_llNS_24const_host_device_scalarIT1_EEPS3_16rocsparse_order_b,"axG",@progbits,_ZN9rocsparseL15scale_2d_kernelILj256EidEEvT0_S1_llNS_24const_host_device_scalarIT1_EEPS3_16rocsparse_order_b,comdat
	.globl	_ZN9rocsparseL15scale_2d_kernelILj256EidEEvT0_S1_llNS_24const_host_device_scalarIT1_EEPS3_16rocsparse_order_b ; -- Begin function _ZN9rocsparseL15scale_2d_kernelILj256EidEEvT0_S1_llNS_24const_host_device_scalarIT1_EEPS3_16rocsparse_order_b
	.p2align	8
	.type	_ZN9rocsparseL15scale_2d_kernelILj256EidEEvT0_S1_llNS_24const_host_device_scalarIT1_EEPS3_16rocsparse_order_b,@function
_ZN9rocsparseL15scale_2d_kernelILj256EidEEvT0_S1_llNS_24const_host_device_scalarIT1_EEPS3_16rocsparse_order_b: ; @_ZN9rocsparseL15scale_2d_kernelILj256EidEEvT0_S1_llNS_24const_host_device_scalarIT1_EEPS3_16rocsparse_order_b
; %bb.0:
	s_load_dwordx2 s[0:1], s[4:5], 0x28
	s_load_dwordx2 s[2:3], s[4:5], 0x18
	s_waitcnt lgkmcnt(0)
	s_bitcmp1_b32 s1, 0
	s_cselect_b64 s[8:9], -1, 0
	v_mov_b32_e32 v1, s2
	s_and_b64 vcc, exec, s[8:9]
	v_mov_b32_e32 v2, s3
	s_cbranch_vccnz .LBB65_2
; %bb.1:
	v_mov_b32_e32 v1, s2
	v_mov_b32_e32 v2, s3
	flat_load_dwordx2 v[1:2], v[1:2]
.LBB65_2:
	s_waitcnt vmcnt(0) lgkmcnt(0)
	v_cmp_neq_f64_e32 vcc, 1.0, v[1:2]
	s_and_saveexec_b64 s[2:3], vcc
	s_cbranch_execz .LBB65_7
; %bb.3:
	s_load_dwordx2 s[2:3], s[4:5], 0x0
	v_lshl_or_b32 v0, s6, 8, v0
	s_waitcnt lgkmcnt(0)
	s_mul_i32 s1, s3, s2
	v_cmp_gt_i32_e32 vcc, s1, v0
	s_and_b64 exec, exec, vcc
	s_cbranch_execz .LBB65_7
; %bb.4:
	s_cmp_eq_u32 s0, 1
	s_cselect_b32 s6, s2, s3
	s_abs_i32 s12, s6
	v_cvt_f32_u32_e32 v3, s12
	s_sub_i32 s0, 0, s12
	v_sub_u32_e32 v6, 0, v0
	v_max_i32_e32 v6, v0, v6
	v_rcp_iflag_f32_e32 v3, v3
	s_load_dwordx4 s[8:11], s[4:5], 0x8
	s_load_dwordx2 s[2:3], s[4:5], 0x20
	v_cmp_neq_f64_e32 vcc, 0, v[1:2]
	v_mul_f32_e32 v3, 0x4f7ffffe, v3
	v_cvt_u32_f32_e32 v5, v3
	s_waitcnt lgkmcnt(0)
	s_mul_hi_u32 s4, s10, s7
	v_mul_lo_u32 v3, s0, v5
	s_ashr_i32 s0, s7, 31
	s_mul_i32 s5, s10, s0
	v_mul_hi_u32 v7, v5, v3
	v_mov_b32_e32 v3, 0
	v_mov_b32_e32 v4, 0
	v_add_u32_e32 v5, v5, v7
	v_mul_hi_u32 v5, v6, v5
	v_xor_b32_e32 v7, s6, v0
	v_ashrrev_i32_e32 v7, 31, v7
	v_mul_lo_u32 v8, v5, s12
	v_add_u32_e32 v9, 1, v5
	v_sub_u32_e32 v6, v6, v8
	v_cmp_le_u32_e64 s[0:1], s12, v6
	v_subrev_u32_e32 v8, s12, v6
	v_cndmask_b32_e64 v5, v5, v9, s[0:1]
	v_cndmask_b32_e64 v6, v6, v8, s[0:1]
	v_add_u32_e32 v8, 1, v5
	v_cmp_le_u32_e64 s[0:1], s12, v6
	v_cndmask_b32_e64 v5, v5, v8, s[0:1]
	v_xor_b32_e32 v5, v5, v7
	v_sub_u32_e32 v5, v5, v7
	v_ashrrev_i32_e32 v8, 31, v5
	v_mul_lo_u32 v7, v5, s6
	v_mul_lo_u32 v9, s9, v5
	v_mad_u64_u32 v[5:6], s[0:1], s8, v5, 0
	v_mul_lo_u32 v10, s8, v8
	s_add_i32 s0, s4, s5
	v_sub_u32_e32 v7, v0, v7
	s_mul_i32 s1, s11, s7
	v_add3_u32 v6, v6, v10, v9
	v_lshlrev_b64 v[5:6], 3, v[5:6]
	v_ashrrev_i32_e32 v8, 31, v7
	s_add_i32 s5, s0, s1
	v_mov_b32_e32 v0, s3
	v_add_co_u32_e64 v9, s[0:1], s2, v5
	v_addc_co_u32_e64 v0, s[0:1], v0, v6, s[0:1]
	v_lshlrev_b64 v[5:6], 3, v[7:8]
	s_mul_i32 s4, s10, s7
	v_add_co_u32_e64 v5, s[0:1], v9, v5
	v_addc_co_u32_e64 v0, s[0:1], v0, v6, s[0:1]
	s_lshl_b64 s[0:1], s[4:5], 3
	v_mov_b32_e32 v6, s1
	v_add_co_u32_e64 v5, s[0:1], s0, v5
	v_addc_co_u32_e64 v6, s[0:1], v0, v6, s[0:1]
	s_and_saveexec_b64 s[0:1], vcc
	s_cbranch_execz .LBB65_6
; %bb.5:
	global_load_dwordx2 v[3:4], v[5:6], off
	s_waitcnt vmcnt(0)
	v_mul_f64 v[3:4], v[1:2], v[3:4]
.LBB65_6:
	s_or_b64 exec, exec, s[0:1]
	global_store_dwordx2 v[5:6], v[3:4], off
.LBB65_7:
	s_endpgm
	.section	.rodata,"a",@progbits
	.p2align	6, 0x0
	.amdhsa_kernel _ZN9rocsparseL15scale_2d_kernelILj256EidEEvT0_S1_llNS_24const_host_device_scalarIT1_EEPS3_16rocsparse_order_b
		.amdhsa_group_segment_fixed_size 0
		.amdhsa_private_segment_fixed_size 0
		.amdhsa_kernarg_size 48
		.amdhsa_user_sgpr_count 6
		.amdhsa_user_sgpr_private_segment_buffer 1
		.amdhsa_user_sgpr_dispatch_ptr 0
		.amdhsa_user_sgpr_queue_ptr 0
		.amdhsa_user_sgpr_kernarg_segment_ptr 1
		.amdhsa_user_sgpr_dispatch_id 0
		.amdhsa_user_sgpr_flat_scratch_init 0
		.amdhsa_user_sgpr_private_segment_size 0
		.amdhsa_uses_dynamic_stack 0
		.amdhsa_system_sgpr_private_segment_wavefront_offset 0
		.amdhsa_system_sgpr_workgroup_id_x 1
		.amdhsa_system_sgpr_workgroup_id_y 1
		.amdhsa_system_sgpr_workgroup_id_z 0
		.amdhsa_system_sgpr_workgroup_info 0
		.amdhsa_system_vgpr_workitem_id 0
		.amdhsa_next_free_vgpr 11
		.amdhsa_next_free_sgpr 13
		.amdhsa_reserve_vcc 1
		.amdhsa_reserve_flat_scratch 0
		.amdhsa_float_round_mode_32 0
		.amdhsa_float_round_mode_16_64 0
		.amdhsa_float_denorm_mode_32 3
		.amdhsa_float_denorm_mode_16_64 3
		.amdhsa_dx10_clamp 1
		.amdhsa_ieee_mode 1
		.amdhsa_fp16_overflow 0
		.amdhsa_exception_fp_ieee_invalid_op 0
		.amdhsa_exception_fp_denorm_src 0
		.amdhsa_exception_fp_ieee_div_zero 0
		.amdhsa_exception_fp_ieee_overflow 0
		.amdhsa_exception_fp_ieee_underflow 0
		.amdhsa_exception_fp_ieee_inexact 0
		.amdhsa_exception_int_div_zero 0
	.end_amdhsa_kernel
	.section	.text._ZN9rocsparseL15scale_2d_kernelILj256EidEEvT0_S1_llNS_24const_host_device_scalarIT1_EEPS3_16rocsparse_order_b,"axG",@progbits,_ZN9rocsparseL15scale_2d_kernelILj256EidEEvT0_S1_llNS_24const_host_device_scalarIT1_EEPS3_16rocsparse_order_b,comdat
.Lfunc_end65:
	.size	_ZN9rocsparseL15scale_2d_kernelILj256EidEEvT0_S1_llNS_24const_host_device_scalarIT1_EEPS3_16rocsparse_order_b, .Lfunc_end65-_ZN9rocsparseL15scale_2d_kernelILj256EidEEvT0_S1_llNS_24const_host_device_scalarIT1_EEPS3_16rocsparse_order_b
                                        ; -- End function
	.set _ZN9rocsparseL15scale_2d_kernelILj256EidEEvT0_S1_llNS_24const_host_device_scalarIT1_EEPS3_16rocsparse_order_b.num_vgpr, 11
	.set _ZN9rocsparseL15scale_2d_kernelILj256EidEEvT0_S1_llNS_24const_host_device_scalarIT1_EEPS3_16rocsparse_order_b.num_agpr, 0
	.set _ZN9rocsparseL15scale_2d_kernelILj256EidEEvT0_S1_llNS_24const_host_device_scalarIT1_EEPS3_16rocsparse_order_b.numbered_sgpr, 13
	.set _ZN9rocsparseL15scale_2d_kernelILj256EidEEvT0_S1_llNS_24const_host_device_scalarIT1_EEPS3_16rocsparse_order_b.num_named_barrier, 0
	.set _ZN9rocsparseL15scale_2d_kernelILj256EidEEvT0_S1_llNS_24const_host_device_scalarIT1_EEPS3_16rocsparse_order_b.private_seg_size, 0
	.set _ZN9rocsparseL15scale_2d_kernelILj256EidEEvT0_S1_llNS_24const_host_device_scalarIT1_EEPS3_16rocsparse_order_b.uses_vcc, 1
	.set _ZN9rocsparseL15scale_2d_kernelILj256EidEEvT0_S1_llNS_24const_host_device_scalarIT1_EEPS3_16rocsparse_order_b.uses_flat_scratch, 0
	.set _ZN9rocsparseL15scale_2d_kernelILj256EidEEvT0_S1_llNS_24const_host_device_scalarIT1_EEPS3_16rocsparse_order_b.has_dyn_sized_stack, 0
	.set _ZN9rocsparseL15scale_2d_kernelILj256EidEEvT0_S1_llNS_24const_host_device_scalarIT1_EEPS3_16rocsparse_order_b.has_recursion, 0
	.set _ZN9rocsparseL15scale_2d_kernelILj256EidEEvT0_S1_llNS_24const_host_device_scalarIT1_EEPS3_16rocsparse_order_b.has_indirect_call, 0
	.section	.AMDGPU.csdata,"",@progbits
; Kernel info:
; codeLenInByte = 496
; TotalNumSgprs: 17
; NumVgprs: 11
; ScratchSize: 0
; MemoryBound: 1
; FloatMode: 240
; IeeeMode: 1
; LDSByteSize: 0 bytes/workgroup (compile time only)
; SGPRBlocks: 2
; VGPRBlocks: 2
; NumSGPRsForWavesPerEU: 17
; NumVGPRsForWavesPerEU: 11
; Occupancy: 10
; WaveLimiterHint : 0
; COMPUTE_PGM_RSRC2:SCRATCH_EN: 0
; COMPUTE_PGM_RSRC2:USER_SGPR: 6
; COMPUTE_PGM_RSRC2:TRAP_HANDLER: 0
; COMPUTE_PGM_RSRC2:TGID_X_EN: 1
; COMPUTE_PGM_RSRC2:TGID_Y_EN: 1
; COMPUTE_PGM_RSRC2:TGID_Z_EN: 0
; COMPUTE_PGM_RSRC2:TIDIG_COMP_CNT: 0
	.section	.text._ZN9rocsparseL15scale_2d_kernelILj256Ei21rocsparse_complex_numIfEEEvT0_S3_llNS_24const_host_device_scalarIT1_EEPS5_16rocsparse_order_b,"axG",@progbits,_ZN9rocsparseL15scale_2d_kernelILj256Ei21rocsparse_complex_numIfEEEvT0_S3_llNS_24const_host_device_scalarIT1_EEPS5_16rocsparse_order_b,comdat
	.globl	_ZN9rocsparseL15scale_2d_kernelILj256Ei21rocsparse_complex_numIfEEEvT0_S3_llNS_24const_host_device_scalarIT1_EEPS5_16rocsparse_order_b ; -- Begin function _ZN9rocsparseL15scale_2d_kernelILj256Ei21rocsparse_complex_numIfEEEvT0_S3_llNS_24const_host_device_scalarIT1_EEPS5_16rocsparse_order_b
	.p2align	8
	.type	_ZN9rocsparseL15scale_2d_kernelILj256Ei21rocsparse_complex_numIfEEEvT0_S3_llNS_24const_host_device_scalarIT1_EEPS5_16rocsparse_order_b,@function
_ZN9rocsparseL15scale_2d_kernelILj256Ei21rocsparse_complex_numIfEEEvT0_S3_llNS_24const_host_device_scalarIT1_EEPS5_16rocsparse_order_b: ; @_ZN9rocsparseL15scale_2d_kernelILj256Ei21rocsparse_complex_numIfEEEvT0_S3_llNS_24const_host_device_scalarIT1_EEPS5_16rocsparse_order_b
; %bb.0:
	s_load_dwordx2 s[2:3], s[4:5], 0x28
	s_load_dwordx2 s[0:1], s[4:5], 0x18
	s_add_u32 s8, s4, 24
	s_addc_u32 s9, s5, 0
	s_waitcnt lgkmcnt(0)
	s_bitcmp1_b32 s3, 0
	s_cselect_b32 s1, s9, s1
	s_cselect_b32 s0, s8, s0
	v_mov_b32_e32 v1, s0
	v_mov_b32_e32 v2, s1
	flat_load_dwordx2 v[1:2], v[1:2]
	s_waitcnt vmcnt(0) lgkmcnt(0)
	v_cmp_neq_f32_e32 vcc, 1.0, v1
	v_cmp_neq_f32_e64 s[0:1], 0, v2
	s_or_b64 s[0:1], vcc, s[0:1]
	s_and_saveexec_b64 s[8:9], s[0:1]
	s_cbranch_execz .LBB66_6
; %bb.1:
	s_load_dwordx2 s[0:1], s[4:5], 0x0
	v_lshl_or_b32 v0, s6, 8, v0
	s_waitcnt lgkmcnt(0)
	s_mul_i32 s3, s1, s0
	v_cmp_gt_i32_e32 vcc, s3, v0
	s_and_b64 exec, exec, vcc
	s_cbranch_execz .LBB66_6
; %bb.2:
	s_cmp_eq_u32 s2, 1
	s_cselect_b32 s6, s0, s1
	s_abs_i32 s12, s6
	v_cvt_f32_u32_e32 v3, s12
	s_sub_i32 s0, 0, s12
	v_sub_u32_e32 v5, 0, v0
	v_max_i32_e32 v5, v0, v5
	v_rcp_iflag_f32_e32 v3, v3
	v_cmp_neq_f32_e32 vcc, 0, v1
	s_load_dwordx4 s[8:11], s[4:5], 0x8
	s_load_dwordx2 s[2:3], s[4:5], 0x20
	s_ashr_i32 s13, s7, 31
	v_mul_f32_e32 v3, 0x4f7ffffe, v3
	v_cvt_u32_f32_e32 v3, v3
	s_waitcnt lgkmcnt(0)
	s_mul_hi_u32 s14, s10, s7
	v_mul_lo_u32 v4, s0, v3
	v_cmp_neq_f32_e64 s[0:1], 0, v2
	s_or_b64 s[0:1], vcc, s[0:1]
	v_mul_hi_u32 v4, v3, v4
	v_add_u32_e32 v3, v3, v4
	v_mul_hi_u32 v3, v5, v3
	v_xor_b32_e32 v4, s6, v0
	v_ashrrev_i32_e32 v4, 31, v4
	v_mul_lo_u32 v6, v3, s12
	v_add_u32_e32 v7, 1, v3
	v_sub_u32_e32 v5, v5, v6
	v_cmp_le_u32_e32 vcc, s12, v5
	v_subrev_u32_e32 v6, s12, v5
	v_cndmask_b32_e32 v3, v3, v7, vcc
	v_cndmask_b32_e32 v5, v5, v6, vcc
	v_add_u32_e32 v6, 1, v3
	v_cmp_le_u32_e32 vcc, s12, v5
	v_cndmask_b32_e32 v3, v3, v6, vcc
	v_xor_b32_e32 v3, v3, v4
	v_sub_u32_e32 v3, v3, v4
	v_ashrrev_i32_e32 v6, 31, v3
	v_mul_lo_u32 v5, v3, s6
	v_mul_lo_u32 v7, s9, v3
	v_mad_u64_u32 v[3:4], s[4:5], s8, v3, 0
	v_mul_lo_u32 v8, s8, v6
	v_sub_u32_e32 v5, v0, v5
	v_ashrrev_i32_e32 v6, 31, v5
	v_mov_b32_e32 v0, s3
	v_add3_u32 v4, v4, v8, v7
	v_lshlrev_b64 v[3:4], 3, v[3:4]
	s_mul_i32 s4, s10, s13
	v_add_co_u32_e32 v7, vcc, s2, v3
	v_addc_co_u32_e32 v0, vcc, v0, v4, vcc
	v_lshlrev_b64 v[3:4], 3, v[5:6]
	s_add_i32 s4, s14, s4
	s_mul_i32 s5, s11, s7
	s_add_i32 s5, s4, s5
	s_mul_i32 s4, s10, s7
	v_add_co_u32_e32 v3, vcc, v7, v3
	v_addc_co_u32_e32 v0, vcc, v0, v4, vcc
	s_lshl_b64 s[2:3], s[4:5], 3
	v_mov_b32_e32 v4, s3
	v_add_co_u32_e32 v3, vcc, s2, v3
	v_addc_co_u32_e32 v4, vcc, v0, v4, vcc
	s_and_saveexec_b64 s[2:3], s[0:1]
	s_xor_b64 s[0:1], exec, s[2:3]
	s_cbranch_execz .LBB66_4
; %bb.3:
	global_load_dwordx2 v[5:6], v[3:4], off
	s_waitcnt vmcnt(0)
	v_mul_f32_e64 v7, v2, -v6
	v_mul_f32_e32 v8, v2, v5
	v_fmac_f32_e32 v7, v5, v1
	v_fmac_f32_e32 v8, v6, v1
	global_store_dwordx2 v[3:4], v[7:8], off
                                        ; implicit-def: $vgpr3_vgpr4
.LBB66_4:
	s_andn2_saveexec_b64 s[0:1], s[0:1]
	s_cbranch_execz .LBB66_6
; %bb.5:
	v_mov_b32_e32 v0, 0
	v_mov_b32_e32 v1, v0
	global_store_dwordx2 v[3:4], v[0:1], off
.LBB66_6:
	s_endpgm
	.section	.rodata,"a",@progbits
	.p2align	6, 0x0
	.amdhsa_kernel _ZN9rocsparseL15scale_2d_kernelILj256Ei21rocsparse_complex_numIfEEEvT0_S3_llNS_24const_host_device_scalarIT1_EEPS5_16rocsparse_order_b
		.amdhsa_group_segment_fixed_size 0
		.amdhsa_private_segment_fixed_size 0
		.amdhsa_kernarg_size 48
		.amdhsa_user_sgpr_count 6
		.amdhsa_user_sgpr_private_segment_buffer 1
		.amdhsa_user_sgpr_dispatch_ptr 0
		.amdhsa_user_sgpr_queue_ptr 0
		.amdhsa_user_sgpr_kernarg_segment_ptr 1
		.amdhsa_user_sgpr_dispatch_id 0
		.amdhsa_user_sgpr_flat_scratch_init 0
		.amdhsa_user_sgpr_private_segment_size 0
		.amdhsa_uses_dynamic_stack 0
		.amdhsa_system_sgpr_private_segment_wavefront_offset 0
		.amdhsa_system_sgpr_workgroup_id_x 1
		.amdhsa_system_sgpr_workgroup_id_y 1
		.amdhsa_system_sgpr_workgroup_id_z 0
		.amdhsa_system_sgpr_workgroup_info 0
		.amdhsa_system_vgpr_workitem_id 0
		.amdhsa_next_free_vgpr 9
		.amdhsa_next_free_sgpr 15
		.amdhsa_reserve_vcc 1
		.amdhsa_reserve_flat_scratch 0
		.amdhsa_float_round_mode_32 0
		.amdhsa_float_round_mode_16_64 0
		.amdhsa_float_denorm_mode_32 3
		.amdhsa_float_denorm_mode_16_64 3
		.amdhsa_dx10_clamp 1
		.amdhsa_ieee_mode 1
		.amdhsa_fp16_overflow 0
		.amdhsa_exception_fp_ieee_invalid_op 0
		.amdhsa_exception_fp_denorm_src 0
		.amdhsa_exception_fp_ieee_div_zero 0
		.amdhsa_exception_fp_ieee_overflow 0
		.amdhsa_exception_fp_ieee_underflow 0
		.amdhsa_exception_fp_ieee_inexact 0
		.amdhsa_exception_int_div_zero 0
	.end_amdhsa_kernel
	.section	.text._ZN9rocsparseL15scale_2d_kernelILj256Ei21rocsparse_complex_numIfEEEvT0_S3_llNS_24const_host_device_scalarIT1_EEPS5_16rocsparse_order_b,"axG",@progbits,_ZN9rocsparseL15scale_2d_kernelILj256Ei21rocsparse_complex_numIfEEEvT0_S3_llNS_24const_host_device_scalarIT1_EEPS5_16rocsparse_order_b,comdat
.Lfunc_end66:
	.size	_ZN9rocsparseL15scale_2d_kernelILj256Ei21rocsparse_complex_numIfEEEvT0_S3_llNS_24const_host_device_scalarIT1_EEPS5_16rocsparse_order_b, .Lfunc_end66-_ZN9rocsparseL15scale_2d_kernelILj256Ei21rocsparse_complex_numIfEEEvT0_S3_llNS_24const_host_device_scalarIT1_EEPS5_16rocsparse_order_b
                                        ; -- End function
	.set _ZN9rocsparseL15scale_2d_kernelILj256Ei21rocsparse_complex_numIfEEEvT0_S3_llNS_24const_host_device_scalarIT1_EEPS5_16rocsparse_order_b.num_vgpr, 9
	.set _ZN9rocsparseL15scale_2d_kernelILj256Ei21rocsparse_complex_numIfEEEvT0_S3_llNS_24const_host_device_scalarIT1_EEPS5_16rocsparse_order_b.num_agpr, 0
	.set _ZN9rocsparseL15scale_2d_kernelILj256Ei21rocsparse_complex_numIfEEEvT0_S3_llNS_24const_host_device_scalarIT1_EEPS5_16rocsparse_order_b.numbered_sgpr, 15
	.set _ZN9rocsparseL15scale_2d_kernelILj256Ei21rocsparse_complex_numIfEEEvT0_S3_llNS_24const_host_device_scalarIT1_EEPS5_16rocsparse_order_b.num_named_barrier, 0
	.set _ZN9rocsparseL15scale_2d_kernelILj256Ei21rocsparse_complex_numIfEEEvT0_S3_llNS_24const_host_device_scalarIT1_EEPS5_16rocsparse_order_b.private_seg_size, 0
	.set _ZN9rocsparseL15scale_2d_kernelILj256Ei21rocsparse_complex_numIfEEEvT0_S3_llNS_24const_host_device_scalarIT1_EEPS5_16rocsparse_order_b.uses_vcc, 1
	.set _ZN9rocsparseL15scale_2d_kernelILj256Ei21rocsparse_complex_numIfEEEvT0_S3_llNS_24const_host_device_scalarIT1_EEPS5_16rocsparse_order_b.uses_flat_scratch, 0
	.set _ZN9rocsparseL15scale_2d_kernelILj256Ei21rocsparse_complex_numIfEEEvT0_S3_llNS_24const_host_device_scalarIT1_EEPS5_16rocsparse_order_b.has_dyn_sized_stack, 0
	.set _ZN9rocsparseL15scale_2d_kernelILj256Ei21rocsparse_complex_numIfEEEvT0_S3_llNS_24const_host_device_scalarIT1_EEPS5_16rocsparse_order_b.has_recursion, 0
	.set _ZN9rocsparseL15scale_2d_kernelILj256Ei21rocsparse_complex_numIfEEEvT0_S3_llNS_24const_host_device_scalarIT1_EEPS5_16rocsparse_order_b.has_indirect_call, 0
	.section	.AMDGPU.csdata,"",@progbits
; Kernel info:
; codeLenInByte = 500
; TotalNumSgprs: 19
; NumVgprs: 9
; ScratchSize: 0
; MemoryBound: 0
; FloatMode: 240
; IeeeMode: 1
; LDSByteSize: 0 bytes/workgroup (compile time only)
; SGPRBlocks: 2
; VGPRBlocks: 2
; NumSGPRsForWavesPerEU: 19
; NumVGPRsForWavesPerEU: 9
; Occupancy: 10
; WaveLimiterHint : 0
; COMPUTE_PGM_RSRC2:SCRATCH_EN: 0
; COMPUTE_PGM_RSRC2:USER_SGPR: 6
; COMPUTE_PGM_RSRC2:TRAP_HANDLER: 0
; COMPUTE_PGM_RSRC2:TGID_X_EN: 1
; COMPUTE_PGM_RSRC2:TGID_Y_EN: 1
; COMPUTE_PGM_RSRC2:TGID_Z_EN: 0
; COMPUTE_PGM_RSRC2:TIDIG_COMP_CNT: 0
	.section	.text._ZN9rocsparseL15scale_2d_kernelILj256Ei21rocsparse_complex_numIdEEEvT0_S3_llNS_24const_host_device_scalarIT1_EEPS5_16rocsparse_order_b,"axG",@progbits,_ZN9rocsparseL15scale_2d_kernelILj256Ei21rocsparse_complex_numIdEEEvT0_S3_llNS_24const_host_device_scalarIT1_EEPS5_16rocsparse_order_b,comdat
	.globl	_ZN9rocsparseL15scale_2d_kernelILj256Ei21rocsparse_complex_numIdEEEvT0_S3_llNS_24const_host_device_scalarIT1_EEPS5_16rocsparse_order_b ; -- Begin function _ZN9rocsparseL15scale_2d_kernelILj256Ei21rocsparse_complex_numIdEEEvT0_S3_llNS_24const_host_device_scalarIT1_EEPS5_16rocsparse_order_b
	.p2align	8
	.type	_ZN9rocsparseL15scale_2d_kernelILj256Ei21rocsparse_complex_numIdEEEvT0_S3_llNS_24const_host_device_scalarIT1_EEPS5_16rocsparse_order_b,@function
_ZN9rocsparseL15scale_2d_kernelILj256Ei21rocsparse_complex_numIdEEEvT0_S3_llNS_24const_host_device_scalarIT1_EEPS5_16rocsparse_order_b: ; @_ZN9rocsparseL15scale_2d_kernelILj256Ei21rocsparse_complex_numIdEEEvT0_S3_llNS_24const_host_device_scalarIT1_EEPS5_16rocsparse_order_b
; %bb.0:
	s_load_dwordx2 s[2:3], s[4:5], 0x30
	s_load_dwordx2 s[0:1], s[4:5], 0x18
	s_add_u32 s8, s4, 24
	s_addc_u32 s9, s5, 0
	s_waitcnt lgkmcnt(0)
	s_bitcmp1_b32 s3, 0
	s_cselect_b32 s1, s9, s1
	s_cselect_b32 s0, s8, s0
	v_mov_b32_e32 v1, s0
	v_mov_b32_e32 v2, s1
	flat_load_dwordx4 v[1:4], v[1:2]
	s_waitcnt vmcnt(0) lgkmcnt(0)
	v_cmp_neq_f64_e32 vcc, 1.0, v[1:2]
	v_cmp_neq_f64_e64 s[0:1], 0, v[3:4]
	s_or_b64 s[0:1], vcc, s[0:1]
	s_and_saveexec_b64 s[8:9], s[0:1]
	s_cbranch_execz .LBB67_5
; %bb.1:
	s_load_dwordx2 s[0:1], s[4:5], 0x0
	v_lshl_or_b32 v0, s6, 8, v0
	s_waitcnt lgkmcnt(0)
	s_mul_i32 s3, s1, s0
	v_cmp_gt_i32_e32 vcc, s3, v0
	s_and_b64 exec, exec, vcc
	s_cbranch_execz .LBB67_5
; %bb.2:
	s_cmp_eq_u32 s2, 1
	s_cselect_b32 s6, s0, s1
	s_abs_i32 s14, s6
	v_cvt_f32_u32_e32 v5, s14
	s_sub_i32 s0, 0, s14
	v_sub_u32_e32 v8, 0, v0
	v_max_i32_e32 v8, v0, v8
	v_rcp_iflag_f32_e32 v5, v5
	s_load_dwordx4 s[8:11], s[4:5], 0x8
	s_load_dwordx2 s[12:13], s[4:5], 0x28
	v_cmp_neq_f64_e32 vcc, 0, v[1:2]
	s_ashr_i32 s4, s7, 31
	v_mul_f32_e32 v5, 0x4f7ffffe, v5
	v_cvt_u32_f32_e32 v7, v5
	s_waitcnt lgkmcnt(0)
	s_mul_hi_u32 s5, s10, s7
	v_mul_lo_u32 v5, s0, v7
	v_cmp_neq_f64_e64 s[0:1], 0, v[3:4]
	v_mul_hi_u32 v9, v7, v5
	v_mov_b32_e32 v5, 0
	v_mov_b32_e32 v6, 0
	v_add_u32_e32 v7, v7, v9
	v_mul_hi_u32 v7, v8, v7
	v_xor_b32_e32 v9, s6, v0
	v_ashrrev_i32_e32 v9, 31, v9
	v_mul_lo_u32 v10, v7, s14
	v_add_u32_e32 v11, 1, v7
	v_sub_u32_e32 v8, v8, v10
	v_cmp_le_u32_e64 s[2:3], s14, v8
	v_subrev_u32_e32 v10, s14, v8
	v_cndmask_b32_e64 v7, v7, v11, s[2:3]
	v_cndmask_b32_e64 v8, v8, v10, s[2:3]
	v_add_u32_e32 v10, 1, v7
	v_cmp_le_u32_e64 s[2:3], s14, v8
	v_cndmask_b32_e64 v7, v7, v10, s[2:3]
	v_xor_b32_e32 v7, v7, v9
	v_sub_u32_e32 v7, v7, v9
	v_ashrrev_i32_e32 v10, 31, v7
	v_mul_lo_u32 v9, v7, s6
	v_mul_lo_u32 v11, s9, v7
	v_mad_u64_u32 v[7:8], s[2:3], s8, v7, 0
	v_mul_lo_u32 v12, s8, v10
	v_sub_u32_e32 v9, v0, v9
	s_or_b64 s[2:3], vcc, s[0:1]
	v_ashrrev_i32_e32 v10, 31, v9
	v_add3_u32 v8, v8, v12, v11
	v_lshlrev_b64 v[7:8], 4, v[7:8]
	v_mov_b32_e32 v0, s13
	v_add_co_u32_e32 v11, vcc, s12, v7
	s_mul_i32 s0, s10, s4
	v_addc_co_u32_e32 v0, vcc, v0, v8, vcc
	v_lshlrev_b64 v[7:8], 4, v[9:10]
	s_add_i32 s0, s5, s0
	s_mul_i32 s1, s11, s7
	s_add_i32 s1, s0, s1
	s_mul_i32 s0, s10, s7
	v_add_co_u32_e32 v9, vcc, v11, v7
	v_addc_co_u32_e32 v0, vcc, v0, v8, vcc
	s_lshl_b64 s[0:1], s[0:1], 4
	v_mov_b32_e32 v10, s1
	v_mov_b32_e32 v7, 0
	v_add_co_u32_e32 v9, vcc, s0, v9
	v_mov_b32_e32 v8, 0
	v_addc_co_u32_e32 v10, vcc, v0, v10, vcc
	s_and_saveexec_b64 s[0:1], s[2:3]
	s_cbranch_execz .LBB67_4
; %bb.3:
	global_load_dwordx4 v[5:8], v[9:10], off
	s_waitcnt vmcnt(0)
	v_mul_f64 v[11:12], v[3:4], -v[7:8]
	v_mul_f64 v[3:4], v[3:4], v[5:6]
	v_fma_f64 v[5:6], v[5:6], v[1:2], v[11:12]
	v_fma_f64 v[7:8], v[7:8], v[1:2], v[3:4]
.LBB67_4:
	s_or_b64 exec, exec, s[0:1]
	global_store_dwordx4 v[9:10], v[5:8], off
.LBB67_5:
	s_endpgm
	.section	.rodata,"a",@progbits
	.p2align	6, 0x0
	.amdhsa_kernel _ZN9rocsparseL15scale_2d_kernelILj256Ei21rocsparse_complex_numIdEEEvT0_S3_llNS_24const_host_device_scalarIT1_EEPS5_16rocsparse_order_b
		.amdhsa_group_segment_fixed_size 0
		.amdhsa_private_segment_fixed_size 0
		.amdhsa_kernarg_size 56
		.amdhsa_user_sgpr_count 6
		.amdhsa_user_sgpr_private_segment_buffer 1
		.amdhsa_user_sgpr_dispatch_ptr 0
		.amdhsa_user_sgpr_queue_ptr 0
		.amdhsa_user_sgpr_kernarg_segment_ptr 1
		.amdhsa_user_sgpr_dispatch_id 0
		.amdhsa_user_sgpr_flat_scratch_init 0
		.amdhsa_user_sgpr_private_segment_size 0
		.amdhsa_uses_dynamic_stack 0
		.amdhsa_system_sgpr_private_segment_wavefront_offset 0
		.amdhsa_system_sgpr_workgroup_id_x 1
		.amdhsa_system_sgpr_workgroup_id_y 1
		.amdhsa_system_sgpr_workgroup_id_z 0
		.amdhsa_system_sgpr_workgroup_info 0
		.amdhsa_system_vgpr_workitem_id 0
		.amdhsa_next_free_vgpr 13
		.amdhsa_next_free_sgpr 15
		.amdhsa_reserve_vcc 1
		.amdhsa_reserve_flat_scratch 0
		.amdhsa_float_round_mode_32 0
		.amdhsa_float_round_mode_16_64 0
		.amdhsa_float_denorm_mode_32 3
		.amdhsa_float_denorm_mode_16_64 3
		.amdhsa_dx10_clamp 1
		.amdhsa_ieee_mode 1
		.amdhsa_fp16_overflow 0
		.amdhsa_exception_fp_ieee_invalid_op 0
		.amdhsa_exception_fp_denorm_src 0
		.amdhsa_exception_fp_ieee_div_zero 0
		.amdhsa_exception_fp_ieee_overflow 0
		.amdhsa_exception_fp_ieee_underflow 0
		.amdhsa_exception_fp_ieee_inexact 0
		.amdhsa_exception_int_div_zero 0
	.end_amdhsa_kernel
	.section	.text._ZN9rocsparseL15scale_2d_kernelILj256Ei21rocsparse_complex_numIdEEEvT0_S3_llNS_24const_host_device_scalarIT1_EEPS5_16rocsparse_order_b,"axG",@progbits,_ZN9rocsparseL15scale_2d_kernelILj256Ei21rocsparse_complex_numIdEEEvT0_S3_llNS_24const_host_device_scalarIT1_EEPS5_16rocsparse_order_b,comdat
.Lfunc_end67:
	.size	_ZN9rocsparseL15scale_2d_kernelILj256Ei21rocsparse_complex_numIdEEEvT0_S3_llNS_24const_host_device_scalarIT1_EEPS5_16rocsparse_order_b, .Lfunc_end67-_ZN9rocsparseL15scale_2d_kernelILj256Ei21rocsparse_complex_numIdEEEvT0_S3_llNS_24const_host_device_scalarIT1_EEPS5_16rocsparse_order_b
                                        ; -- End function
	.set _ZN9rocsparseL15scale_2d_kernelILj256Ei21rocsparse_complex_numIdEEEvT0_S3_llNS_24const_host_device_scalarIT1_EEPS5_16rocsparse_order_b.num_vgpr, 13
	.set _ZN9rocsparseL15scale_2d_kernelILj256Ei21rocsparse_complex_numIdEEEvT0_S3_llNS_24const_host_device_scalarIT1_EEPS5_16rocsparse_order_b.num_agpr, 0
	.set _ZN9rocsparseL15scale_2d_kernelILj256Ei21rocsparse_complex_numIdEEEvT0_S3_llNS_24const_host_device_scalarIT1_EEPS5_16rocsparse_order_b.numbered_sgpr, 15
	.set _ZN9rocsparseL15scale_2d_kernelILj256Ei21rocsparse_complex_numIdEEEvT0_S3_llNS_24const_host_device_scalarIT1_EEPS5_16rocsparse_order_b.num_named_barrier, 0
	.set _ZN9rocsparseL15scale_2d_kernelILj256Ei21rocsparse_complex_numIdEEEvT0_S3_llNS_24const_host_device_scalarIT1_EEPS5_16rocsparse_order_b.private_seg_size, 0
	.set _ZN9rocsparseL15scale_2d_kernelILj256Ei21rocsparse_complex_numIdEEEvT0_S3_llNS_24const_host_device_scalarIT1_EEPS5_16rocsparse_order_b.uses_vcc, 1
	.set _ZN9rocsparseL15scale_2d_kernelILj256Ei21rocsparse_complex_numIdEEEvT0_S3_llNS_24const_host_device_scalarIT1_EEPS5_16rocsparse_order_b.uses_flat_scratch, 0
	.set _ZN9rocsparseL15scale_2d_kernelILj256Ei21rocsparse_complex_numIdEEEvT0_S3_llNS_24const_host_device_scalarIT1_EEPS5_16rocsparse_order_b.has_dyn_sized_stack, 0
	.set _ZN9rocsparseL15scale_2d_kernelILj256Ei21rocsparse_complex_numIdEEEvT0_S3_llNS_24const_host_device_scalarIT1_EEPS5_16rocsparse_order_b.has_recursion, 0
	.set _ZN9rocsparseL15scale_2d_kernelILj256Ei21rocsparse_complex_numIdEEEvT0_S3_llNS_24const_host_device_scalarIT1_EEPS5_16rocsparse_order_b.has_indirect_call, 0
	.section	.AMDGPU.csdata,"",@progbits
; Kernel info:
; codeLenInByte = 524
; TotalNumSgprs: 19
; NumVgprs: 13
; ScratchSize: 0
; MemoryBound: 0
; FloatMode: 240
; IeeeMode: 1
; LDSByteSize: 0 bytes/workgroup (compile time only)
; SGPRBlocks: 2
; VGPRBlocks: 3
; NumSGPRsForWavesPerEU: 19
; NumVGPRsForWavesPerEU: 13
; Occupancy: 10
; WaveLimiterHint : 0
; COMPUTE_PGM_RSRC2:SCRATCH_EN: 0
; COMPUTE_PGM_RSRC2:USER_SGPR: 6
; COMPUTE_PGM_RSRC2:TRAP_HANDLER: 0
; COMPUTE_PGM_RSRC2:TGID_X_EN: 1
; COMPUTE_PGM_RSRC2:TGID_Y_EN: 1
; COMPUTE_PGM_RSRC2:TGID_Z_EN: 0
; COMPUTE_PGM_RSRC2:TIDIG_COMP_CNT: 0
	.section	.text._ZN9rocsparseL15scale_2d_kernelILj256ElDF16_EEvT0_S1_llNS_24const_host_device_scalarIT1_EEPS3_16rocsparse_order_b,"axG",@progbits,_ZN9rocsparseL15scale_2d_kernelILj256ElDF16_EEvT0_S1_llNS_24const_host_device_scalarIT1_EEPS3_16rocsparse_order_b,comdat
	.globl	_ZN9rocsparseL15scale_2d_kernelILj256ElDF16_EEvT0_S1_llNS_24const_host_device_scalarIT1_EEPS3_16rocsparse_order_b ; -- Begin function _ZN9rocsparseL15scale_2d_kernelILj256ElDF16_EEvT0_S1_llNS_24const_host_device_scalarIT1_EEPS3_16rocsparse_order_b
	.p2align	8
	.type	_ZN9rocsparseL15scale_2d_kernelILj256ElDF16_EEvT0_S1_llNS_24const_host_device_scalarIT1_EEPS3_16rocsparse_order_b,@function
_ZN9rocsparseL15scale_2d_kernelILj256ElDF16_EEvT0_S1_llNS_24const_host_device_scalarIT1_EEPS3_16rocsparse_order_b: ; @_ZN9rocsparseL15scale_2d_kernelILj256ElDF16_EEvT0_S1_llNS_24const_host_device_scalarIT1_EEPS3_16rocsparse_order_b
; %bb.0:
	s_load_dwordx2 s[0:1], s[4:5], 0x30
	s_load_dwordx2 s[2:3], s[4:5], 0x20
	s_waitcnt lgkmcnt(0)
	s_bitcmp1_b32 s1, 0
	s_cselect_b64 s[8:9], -1, 0
	s_and_b64 vcc, exec, s[8:9]
	v_mov_b32_e32 v3, s2
	s_cbranch_vccnz .LBB68_2
; %bb.1:
	v_mov_b32_e32 v1, 0
	global_load_ushort v3, v1, s[2:3]
.LBB68_2:
	s_waitcnt vmcnt(0)
	v_cmp_eq_f16_e32 vcc, 1.0, v3
	s_cbranch_vccnz .LBB68_10
; %bb.3:
	s_load_dwordx8 s[8:15], s[4:5], 0x0
	v_lshl_or_b32 v0, s6, 8, v0
	v_mov_b32_e32 v1, 0
	s_waitcnt lgkmcnt(0)
	s_mul_i32 s1, s10, s9
	s_mul_hi_u32 s2, s10, s8
	s_mul_i32 s3, s11, s8
	s_add_i32 s1, s2, s1
	s_add_i32 s3, s1, s3
	s_mul_i32 s2, s10, s8
	v_cmp_gt_i64_e32 vcc, s[2:3], v[0:1]
	s_and_saveexec_b64 s[2:3], vcc
	s_cbranch_execz .LBB68_10
; %bb.4:
	s_load_dwordx2 s[2:3], s[4:5], 0x28
	s_cmp_eq_u32 s0, 1
	s_cselect_b32 s5, s9, s11
	s_mov_b32 s4, 0
	s_cselect_b32 s6, s8, s10
	s_cmp_lg_u64 s[4:5], 0
	s_cbranch_scc0 .LBB68_11
; %bb.5:
	s_ashr_i32 s8, s5, 31
	s_add_u32 s0, s6, s8
	s_mov_b32 s9, s8
	s_addc_u32 s1, s5, s8
	s_xor_b64 s[10:11], s[0:1], s[8:9]
	v_cvt_f32_u32_e32 v1, s10
	v_cvt_f32_u32_e32 v2, s11
	s_sub_u32 s4, 0, s10
	s_subb_u32 s9, 0, s11
	v_add_co_u32_e32 v6, vcc, 0, v0
	v_madmk_f32 v1, v2, 0x4f800000, v1
	v_rcp_f32_e32 v1, v1
	v_mul_f32_e32 v1, 0x5f7ffffc, v1
	v_mul_f32_e32 v2, 0x2f800000, v1
	v_trunc_f32_e32 v2, v2
	v_madmk_f32 v1, v2, 0xcf800000, v1
	v_cvt_u32_f32_e32 v2, v2
	v_cvt_u32_f32_e32 v1, v1
	v_readfirstlane_b32 s16, v2
	v_readfirstlane_b32 s0, v1
	s_mul_i32 s1, s4, s16
	s_mul_hi_u32 s18, s4, s0
	s_mul_i32 s17, s9, s0
	s_add_i32 s1, s18, s1
	s_add_i32 s1, s1, s17
	s_mul_i32 s19, s4, s0
	s_mul_i32 s18, s0, s1
	s_mul_hi_u32 s20, s0, s19
	s_mul_hi_u32 s17, s0, s1
	s_add_u32 s18, s20, s18
	s_addc_u32 s17, 0, s17
	s_mul_hi_u32 s21, s16, s19
	s_mul_i32 s19, s16, s19
	s_add_u32 s18, s18, s19
	s_mul_hi_u32 s20, s16, s1
	s_addc_u32 s17, s17, s21
	s_addc_u32 s18, s20, 0
	s_mul_i32 s1, s16, s1
	s_add_u32 s1, s17, s1
	s_addc_u32 s17, 0, s18
	s_add_u32 s18, s0, s1
	s_cselect_b64 s[0:1], -1, 0
	s_cmp_lg_u64 s[0:1], 0
	s_addc_u32 s16, s16, s17
	s_mul_i32 s0, s4, s16
	s_mul_hi_u32 s1, s4, s18
	s_add_i32 s0, s1, s0
	s_mul_i32 s9, s9, s18
	s_add_i32 s0, s0, s9
	s_mul_i32 s4, s4, s18
	s_mul_hi_u32 s9, s16, s4
	s_mul_i32 s17, s16, s4
	s_mul_i32 s20, s18, s0
	s_mul_hi_u32 s4, s18, s4
	s_mul_hi_u32 s19, s18, s0
	s_add_u32 s4, s4, s20
	s_addc_u32 s19, 0, s19
	s_add_u32 s4, s4, s17
	s_mul_hi_u32 s1, s16, s0
	s_addc_u32 s4, s19, s9
	s_addc_u32 s1, s1, 0
	s_mul_i32 s0, s16, s0
	s_add_u32 s0, s4, s0
	s_addc_u32 s4, 0, s1
	s_add_u32 s9, s18, s0
	s_cselect_b64 s[0:1], -1, 0
	s_cmp_lg_u64 s[0:1], 0
	s_addc_u32 s4, s16, s4
	v_mad_u64_u32 v[1:2], s[0:1], v6, s4, 0
	v_mul_hi_u32 v4, v6, s9
	v_addc_co_u32_e64 v7, s[0:1], 0, 0, vcc
	v_add_co_u32_e32 v8, vcc, v4, v1
	v_addc_co_u32_e32 v9, vcc, 0, v2, vcc
	v_mad_u64_u32 v[1:2], s[0:1], v7, s9, 0
	v_mad_u64_u32 v[4:5], s[0:1], v7, s4, 0
	v_add_co_u32_e32 v1, vcc, v8, v1
	v_addc_co_u32_e32 v1, vcc, v9, v2, vcc
	v_addc_co_u32_e32 v2, vcc, 0, v5, vcc
	v_add_co_u32_e32 v4, vcc, v1, v4
	v_addc_co_u32_e32 v5, vcc, 0, v2, vcc
	v_mul_lo_u32 v8, s11, v4
	v_mul_lo_u32 v9, s10, v5
	v_mad_u64_u32 v[1:2], s[0:1], s10, v4, 0
	v_add3_u32 v2, v2, v9, v8
	v_sub_u32_e32 v8, v7, v2
	v_mov_b32_e32 v9, s11
	v_sub_co_u32_e32 v1, vcc, v6, v1
	v_subb_co_u32_e64 v6, s[0:1], v8, v9, vcc
	v_subrev_co_u32_e64 v8, s[0:1], s10, v1
	v_subbrev_co_u32_e64 v6, s[0:1], 0, v6, s[0:1]
	v_cmp_le_u32_e64 s[0:1], s11, v6
	v_cndmask_b32_e64 v9, 0, -1, s[0:1]
	v_cmp_le_u32_e64 s[0:1], s10, v8
	v_cndmask_b32_e64 v8, 0, -1, s[0:1]
	v_cmp_eq_u32_e64 s[0:1], s11, v6
	v_cndmask_b32_e64 v6, v9, v8, s[0:1]
	v_add_co_u32_e64 v8, s[0:1], 2, v4
	v_subb_co_u32_e32 v2, vcc, v7, v2, vcc
	v_addc_co_u32_e64 v9, s[0:1], 0, v5, s[0:1]
	v_cmp_le_u32_e32 vcc, s11, v2
	v_add_co_u32_e64 v10, s[0:1], 1, v4
	v_cndmask_b32_e64 v7, 0, -1, vcc
	v_cmp_le_u32_e32 vcc, s10, v1
	v_addc_co_u32_e64 v11, s[0:1], 0, v5, s[0:1]
	v_cndmask_b32_e64 v1, 0, -1, vcc
	v_cmp_eq_u32_e32 vcc, s11, v2
	v_cmp_ne_u32_e64 s[0:1], 0, v6
	v_cndmask_b32_e32 v1, v7, v1, vcc
	v_cndmask_b32_e64 v6, v11, v9, s[0:1]
	v_cmp_ne_u32_e32 vcc, 0, v1
	v_cndmask_b32_e64 v2, v10, v8, s[0:1]
	v_cndmask_b32_e32 v1, v5, v6, vcc
	v_cndmask_b32_e32 v2, v4, v2, vcc
	v_xor_b32_e32 v4, s8, v1
	v_xor_b32_e32 v1, s8, v2
	v_mov_b32_e32 v2, s8
	v_subrev_co_u32_e32 v1, vcc, s8, v1
	v_subb_co_u32_e32 v2, vcc, v4, v2, vcc
	s_cbranch_execnz .LBB68_7
.LBB68_6:
	v_cvt_f32_u32_e32 v1, s6
	s_sub_i32 s0, 0, s6
	v_rcp_iflag_f32_e32 v1, v1
	v_mul_f32_e32 v1, 0x4f7ffffe, v1
	v_cvt_u32_f32_e32 v1, v1
	v_mul_lo_u32 v2, s0, v1
	v_mul_hi_u32 v2, v1, v2
	v_add_u32_e32 v1, v1, v2
	v_mul_hi_u32 v1, v0, v1
	v_mul_lo_u32 v2, v1, s6
	v_add_u32_e32 v4, 1, v1
	v_sub_u32_e32 v2, v0, v2
	v_subrev_u32_e32 v5, s6, v2
	v_cmp_le_u32_e32 vcc, s6, v2
	v_cndmask_b32_e32 v2, v2, v5, vcc
	v_cndmask_b32_e32 v1, v1, v4, vcc
	v_add_u32_e32 v4, 1, v1
	v_cmp_le_u32_e32 vcc, s6, v2
	v_cndmask_b32_e32 v1, v1, v4, vcc
	v_mov_b32_e32 v2, 0
.LBB68_7:
	v_mul_lo_u32 v6, v2, s6
	v_mul_lo_u32 v7, v1, s5
	v_mad_u64_u32 v[4:5], s[0:1], v1, s6, 0
	v_mul_lo_u32 v8, v2, s12
	v_mul_lo_u32 v9, v1, s13
	v_add3_u32 v7, v5, v7, v6
	v_mad_u64_u32 v[5:6], s[0:1], v1, s12, 0
	v_sub_co_u32_e32 v0, vcc, v0, v4
	v_subb_co_u32_e32 v1, vcc, 0, v7, vcc
	v_lshlrev_b64 v[0:1], 1, v[0:1]
	s_mul_i32 s0, s15, s7
	s_mul_hi_u32 s1, s14, s7
	v_add3_u32 v6, v6, v9, v8
	s_add_i32 s5, s1, s0
	s_waitcnt lgkmcnt(0)
	v_mov_b32_e32 v4, s3
	v_add_co_u32_e64 v7, s[0:1], s2, v0
	v_addc_co_u32_e64 v4, s[0:1], v4, v1, s[0:1]
	v_lshlrev_b64 v[0:1], 1, v[5:6]
	s_mul_i32 s4, s14, s7
	v_add_co_u32_e64 v0, s[0:1], v7, v0
	v_addc_co_u32_e64 v1, s[0:1], v4, v1, s[0:1]
	s_lshl_b64 s[0:1], s[4:5], 1
	v_cmp_eq_f16_e32 vcc, 0, v3
	v_mov_b32_e32 v4, s1
	v_add_co_u32_e64 v0, s[0:1], s0, v0
	v_mov_b32_e32 v2, 0
	v_addc_co_u32_e64 v1, s[0:1], v1, v4, s[0:1]
	s_cbranch_vccnz .LBB68_9
; %bb.8:
	global_load_ushort v2, v[0:1], off
	s_waitcnt vmcnt(0)
	v_mul_f16_e32 v2, v3, v2
.LBB68_9:
	global_store_short v[0:1], v2, off
.LBB68_10:
	s_endpgm
.LBB68_11:
                                        ; implicit-def: $vgpr1_vgpr2
	s_branch .LBB68_6
	.section	.rodata,"a",@progbits
	.p2align	6, 0x0
	.amdhsa_kernel _ZN9rocsparseL15scale_2d_kernelILj256ElDF16_EEvT0_S1_llNS_24const_host_device_scalarIT1_EEPS3_16rocsparse_order_b
		.amdhsa_group_segment_fixed_size 0
		.amdhsa_private_segment_fixed_size 0
		.amdhsa_kernarg_size 56
		.amdhsa_user_sgpr_count 6
		.amdhsa_user_sgpr_private_segment_buffer 1
		.amdhsa_user_sgpr_dispatch_ptr 0
		.amdhsa_user_sgpr_queue_ptr 0
		.amdhsa_user_sgpr_kernarg_segment_ptr 1
		.amdhsa_user_sgpr_dispatch_id 0
		.amdhsa_user_sgpr_flat_scratch_init 0
		.amdhsa_user_sgpr_private_segment_size 0
		.amdhsa_uses_dynamic_stack 0
		.amdhsa_system_sgpr_private_segment_wavefront_offset 0
		.amdhsa_system_sgpr_workgroup_id_x 1
		.amdhsa_system_sgpr_workgroup_id_y 1
		.amdhsa_system_sgpr_workgroup_id_z 0
		.amdhsa_system_sgpr_workgroup_info 0
		.amdhsa_system_vgpr_workitem_id 0
		.amdhsa_next_free_vgpr 12
		.amdhsa_next_free_sgpr 22
		.amdhsa_reserve_vcc 1
		.amdhsa_reserve_flat_scratch 0
		.amdhsa_float_round_mode_32 0
		.amdhsa_float_round_mode_16_64 0
		.amdhsa_float_denorm_mode_32 3
		.amdhsa_float_denorm_mode_16_64 3
		.amdhsa_dx10_clamp 1
		.amdhsa_ieee_mode 1
		.amdhsa_fp16_overflow 0
		.amdhsa_exception_fp_ieee_invalid_op 0
		.amdhsa_exception_fp_denorm_src 0
		.amdhsa_exception_fp_ieee_div_zero 0
		.amdhsa_exception_fp_ieee_overflow 0
		.amdhsa_exception_fp_ieee_underflow 0
		.amdhsa_exception_fp_ieee_inexact 0
		.amdhsa_exception_int_div_zero 0
	.end_amdhsa_kernel
	.section	.text._ZN9rocsparseL15scale_2d_kernelILj256ElDF16_EEvT0_S1_llNS_24const_host_device_scalarIT1_EEPS3_16rocsparse_order_b,"axG",@progbits,_ZN9rocsparseL15scale_2d_kernelILj256ElDF16_EEvT0_S1_llNS_24const_host_device_scalarIT1_EEPS3_16rocsparse_order_b,comdat
.Lfunc_end68:
	.size	_ZN9rocsparseL15scale_2d_kernelILj256ElDF16_EEvT0_S1_llNS_24const_host_device_scalarIT1_EEPS3_16rocsparse_order_b, .Lfunc_end68-_ZN9rocsparseL15scale_2d_kernelILj256ElDF16_EEvT0_S1_llNS_24const_host_device_scalarIT1_EEPS3_16rocsparse_order_b
                                        ; -- End function
	.set _ZN9rocsparseL15scale_2d_kernelILj256ElDF16_EEvT0_S1_llNS_24const_host_device_scalarIT1_EEPS3_16rocsparse_order_b.num_vgpr, 12
	.set _ZN9rocsparseL15scale_2d_kernelILj256ElDF16_EEvT0_S1_llNS_24const_host_device_scalarIT1_EEPS3_16rocsparse_order_b.num_agpr, 0
	.set _ZN9rocsparseL15scale_2d_kernelILj256ElDF16_EEvT0_S1_llNS_24const_host_device_scalarIT1_EEPS3_16rocsparse_order_b.numbered_sgpr, 22
	.set _ZN9rocsparseL15scale_2d_kernelILj256ElDF16_EEvT0_S1_llNS_24const_host_device_scalarIT1_EEPS3_16rocsparse_order_b.num_named_barrier, 0
	.set _ZN9rocsparseL15scale_2d_kernelILj256ElDF16_EEvT0_S1_llNS_24const_host_device_scalarIT1_EEPS3_16rocsparse_order_b.private_seg_size, 0
	.set _ZN9rocsparseL15scale_2d_kernelILj256ElDF16_EEvT0_S1_llNS_24const_host_device_scalarIT1_EEPS3_16rocsparse_order_b.uses_vcc, 1
	.set _ZN9rocsparseL15scale_2d_kernelILj256ElDF16_EEvT0_S1_llNS_24const_host_device_scalarIT1_EEPS3_16rocsparse_order_b.uses_flat_scratch, 0
	.set _ZN9rocsparseL15scale_2d_kernelILj256ElDF16_EEvT0_S1_llNS_24const_host_device_scalarIT1_EEPS3_16rocsparse_order_b.has_dyn_sized_stack, 0
	.set _ZN9rocsparseL15scale_2d_kernelILj256ElDF16_EEvT0_S1_llNS_24const_host_device_scalarIT1_EEPS3_16rocsparse_order_b.has_recursion, 0
	.set _ZN9rocsparseL15scale_2d_kernelILj256ElDF16_EEvT0_S1_llNS_24const_host_device_scalarIT1_EEPS3_16rocsparse_order_b.has_indirect_call, 0
	.section	.AMDGPU.csdata,"",@progbits
; Kernel info:
; codeLenInByte = 1076
; TotalNumSgprs: 26
; NumVgprs: 12
; ScratchSize: 0
; MemoryBound: 0
; FloatMode: 240
; IeeeMode: 1
; LDSByteSize: 0 bytes/workgroup (compile time only)
; SGPRBlocks: 3
; VGPRBlocks: 2
; NumSGPRsForWavesPerEU: 26
; NumVGPRsForWavesPerEU: 12
; Occupancy: 10
; WaveLimiterHint : 0
; COMPUTE_PGM_RSRC2:SCRATCH_EN: 0
; COMPUTE_PGM_RSRC2:USER_SGPR: 6
; COMPUTE_PGM_RSRC2:TRAP_HANDLER: 0
; COMPUTE_PGM_RSRC2:TGID_X_EN: 1
; COMPUTE_PGM_RSRC2:TGID_Y_EN: 1
; COMPUTE_PGM_RSRC2:TGID_Z_EN: 0
; COMPUTE_PGM_RSRC2:TIDIG_COMP_CNT: 0
	.section	.text._ZN9rocsparseL15scale_2d_kernelILj256EliEEvT0_S1_llNS_24const_host_device_scalarIT1_EEPS3_16rocsparse_order_b,"axG",@progbits,_ZN9rocsparseL15scale_2d_kernelILj256EliEEvT0_S1_llNS_24const_host_device_scalarIT1_EEPS3_16rocsparse_order_b,comdat
	.globl	_ZN9rocsparseL15scale_2d_kernelILj256EliEEvT0_S1_llNS_24const_host_device_scalarIT1_EEPS3_16rocsparse_order_b ; -- Begin function _ZN9rocsparseL15scale_2d_kernelILj256EliEEvT0_S1_llNS_24const_host_device_scalarIT1_EEPS3_16rocsparse_order_b
	.p2align	8
	.type	_ZN9rocsparseL15scale_2d_kernelILj256EliEEvT0_S1_llNS_24const_host_device_scalarIT1_EEPS3_16rocsparse_order_b,@function
_ZN9rocsparseL15scale_2d_kernelILj256EliEEvT0_S1_llNS_24const_host_device_scalarIT1_EEPS3_16rocsparse_order_b: ; @_ZN9rocsparseL15scale_2d_kernelILj256EliEEvT0_S1_llNS_24const_host_device_scalarIT1_EEPS3_16rocsparse_order_b
; %bb.0:
	s_load_dwordx2 s[0:1], s[4:5], 0x30
	s_load_dwordx2 s[2:3], s[4:5], 0x20
	s_waitcnt lgkmcnt(0)
	s_bitcmp0_b32 s1, 0
	s_cbranch_scc0 .LBB69_2
; %bb.1:
	s_load_dword s18, s[2:3], 0x0
	s_cbranch_execz .LBB69_3
	s_branch .LBB69_4
.LBB69_2:
                                        ; implicit-def: $sgpr18
.LBB69_3:
	s_waitcnt lgkmcnt(0)
	s_mov_b32 s18, s2
.LBB69_4:
	s_waitcnt lgkmcnt(0)
	s_cmp_eq_u32 s18, 1
	s_cbranch_scc1 .LBB69_14
; %bb.5:
	s_load_dwordx8 s[8:15], s[4:5], 0x0
	v_lshl_or_b32 v0, s6, 8, v0
	v_mov_b32_e32 v1, 0
	s_waitcnt lgkmcnt(0)
	s_mul_i32 s1, s10, s9
	s_mul_hi_u32 s2, s10, s8
	s_mul_i32 s3, s11, s8
	s_add_i32 s1, s2, s1
	s_add_i32 s3, s1, s3
	s_mul_i32 s2, s10, s8
	v_cmp_gt_i64_e32 vcc, s[2:3], v[0:1]
	s_and_saveexec_b64 s[2:3], vcc
	s_cbranch_execz .LBB69_14
; %bb.6:
	s_load_dwordx2 s[2:3], s[4:5], 0x28
	s_cmp_eq_u32 s0, 1
	s_cselect_b32 s5, s9, s11
	s_mov_b32 s4, 0
	s_cselect_b32 s6, s8, s10
	s_cmp_lg_u64 s[4:5], 0
	s_cbranch_scc0 .LBB69_11
; %bb.7:
	s_ashr_i32 s8, s5, 31
	s_add_u32 s0, s6, s8
	s_mov_b32 s9, s8
	s_addc_u32 s1, s5, s8
	s_xor_b64 s[10:11], s[0:1], s[8:9]
	v_cvt_f32_u32_e32 v1, s10
	v_cvt_f32_u32_e32 v2, s11
	s_sub_u32 s4, 0, s10
	s_subb_u32 s9, 0, s11
	v_add_co_u32_e32 v5, vcc, 0, v0
	v_madmk_f32 v1, v2, 0x4f800000, v1
	v_rcp_f32_e32 v1, v1
	v_mul_f32_e32 v1, 0x5f7ffffc, v1
	v_mul_f32_e32 v2, 0x2f800000, v1
	v_trunc_f32_e32 v2, v2
	v_madmk_f32 v1, v2, 0xcf800000, v1
	v_cvt_u32_f32_e32 v2, v2
	v_cvt_u32_f32_e32 v1, v1
	v_readfirstlane_b32 s16, v2
	v_readfirstlane_b32 s0, v1
	s_mul_i32 s1, s4, s16
	s_mul_hi_u32 s19, s4, s0
	s_mul_i32 s17, s9, s0
	s_add_i32 s1, s19, s1
	s_add_i32 s1, s1, s17
	s_mul_i32 s20, s4, s0
	s_mul_i32 s19, s0, s1
	s_mul_hi_u32 s21, s0, s20
	s_mul_hi_u32 s17, s0, s1
	s_add_u32 s19, s21, s19
	s_addc_u32 s17, 0, s17
	s_mul_hi_u32 s22, s16, s20
	s_mul_i32 s20, s16, s20
	s_add_u32 s19, s19, s20
	s_mul_hi_u32 s21, s16, s1
	s_addc_u32 s17, s17, s22
	s_addc_u32 s19, s21, 0
	s_mul_i32 s1, s16, s1
	s_add_u32 s1, s17, s1
	s_addc_u32 s17, 0, s19
	s_add_u32 s19, s0, s1
	s_cselect_b64 s[0:1], -1, 0
	s_cmp_lg_u64 s[0:1], 0
	s_addc_u32 s16, s16, s17
	s_mul_i32 s0, s4, s16
	s_mul_hi_u32 s1, s4, s19
	s_add_i32 s0, s1, s0
	s_mul_i32 s9, s9, s19
	s_add_i32 s0, s0, s9
	s_mul_i32 s4, s4, s19
	s_mul_hi_u32 s9, s16, s4
	s_mul_i32 s17, s16, s4
	s_mul_i32 s21, s19, s0
	s_mul_hi_u32 s4, s19, s4
	s_mul_hi_u32 s20, s19, s0
	s_add_u32 s4, s4, s21
	s_addc_u32 s20, 0, s20
	s_add_u32 s4, s4, s17
	s_mul_hi_u32 s1, s16, s0
	s_addc_u32 s4, s20, s9
	s_addc_u32 s1, s1, 0
	s_mul_i32 s0, s16, s0
	s_add_u32 s0, s4, s0
	s_addc_u32 s4, 0, s1
	s_add_u32 s9, s19, s0
	s_cselect_b64 s[0:1], -1, 0
	s_cmp_lg_u64 s[0:1], 0
	s_addc_u32 s4, s16, s4
	v_mad_u64_u32 v[1:2], s[0:1], v5, s4, 0
	v_mul_hi_u32 v3, v5, s9
	v_addc_co_u32_e64 v6, s[0:1], 0, 0, vcc
	v_add_co_u32_e32 v7, vcc, v3, v1
	v_addc_co_u32_e32 v8, vcc, 0, v2, vcc
	v_mad_u64_u32 v[1:2], s[0:1], v6, s9, 0
	v_mad_u64_u32 v[3:4], s[0:1], v6, s4, 0
	v_add_co_u32_e32 v1, vcc, v7, v1
	v_addc_co_u32_e32 v1, vcc, v8, v2, vcc
	v_addc_co_u32_e32 v2, vcc, 0, v4, vcc
	v_add_co_u32_e32 v3, vcc, v1, v3
	v_addc_co_u32_e32 v4, vcc, 0, v2, vcc
	v_mul_lo_u32 v7, s11, v3
	v_mul_lo_u32 v8, s10, v4
	v_mad_u64_u32 v[1:2], s[0:1], s10, v3, 0
	v_add3_u32 v2, v2, v8, v7
	v_sub_u32_e32 v7, v6, v2
	v_mov_b32_e32 v8, s11
	v_sub_co_u32_e32 v1, vcc, v5, v1
	v_subb_co_u32_e64 v5, s[0:1], v7, v8, vcc
	v_subrev_co_u32_e64 v7, s[0:1], s10, v1
	v_subbrev_co_u32_e64 v5, s[0:1], 0, v5, s[0:1]
	v_cmp_le_u32_e64 s[0:1], s11, v5
	v_cndmask_b32_e64 v8, 0, -1, s[0:1]
	v_cmp_le_u32_e64 s[0:1], s10, v7
	v_cndmask_b32_e64 v7, 0, -1, s[0:1]
	v_cmp_eq_u32_e64 s[0:1], s11, v5
	v_cndmask_b32_e64 v5, v8, v7, s[0:1]
	v_add_co_u32_e64 v7, s[0:1], 2, v3
	v_subb_co_u32_e32 v2, vcc, v6, v2, vcc
	v_addc_co_u32_e64 v8, s[0:1], 0, v4, s[0:1]
	v_cmp_le_u32_e32 vcc, s11, v2
	v_add_co_u32_e64 v9, s[0:1], 1, v3
	v_cndmask_b32_e64 v6, 0, -1, vcc
	v_cmp_le_u32_e32 vcc, s10, v1
	v_addc_co_u32_e64 v10, s[0:1], 0, v4, s[0:1]
	v_cndmask_b32_e64 v1, 0, -1, vcc
	v_cmp_eq_u32_e32 vcc, s11, v2
	v_cmp_ne_u32_e64 s[0:1], 0, v5
	v_cndmask_b32_e32 v1, v6, v1, vcc
	v_cndmask_b32_e64 v5, v10, v8, s[0:1]
	v_cmp_ne_u32_e32 vcc, 0, v1
	v_cndmask_b32_e64 v2, v9, v7, s[0:1]
	v_cndmask_b32_e32 v1, v4, v5, vcc
	v_cndmask_b32_e32 v2, v3, v2, vcc
	v_xor_b32_e32 v3, s8, v1
	v_xor_b32_e32 v1, s8, v2
	v_mov_b32_e32 v2, s8
	v_subrev_co_u32_e32 v1, vcc, s8, v1
	v_subb_co_u32_e32 v2, vcc, v3, v2, vcc
	s_cbranch_execnz .LBB69_9
.LBB69_8:
	v_cvt_f32_u32_e32 v1, s6
	s_sub_i32 s0, 0, s6
	v_rcp_iflag_f32_e32 v1, v1
	v_mul_f32_e32 v1, 0x4f7ffffe, v1
	v_cvt_u32_f32_e32 v1, v1
	v_mul_lo_u32 v2, s0, v1
	v_mul_hi_u32 v2, v1, v2
	v_add_u32_e32 v1, v1, v2
	v_mul_hi_u32 v1, v0, v1
	v_mul_lo_u32 v2, v1, s6
	v_add_u32_e32 v3, 1, v1
	v_sub_u32_e32 v2, v0, v2
	v_subrev_u32_e32 v4, s6, v2
	v_cmp_le_u32_e32 vcc, s6, v2
	v_cndmask_b32_e32 v2, v2, v4, vcc
	v_cndmask_b32_e32 v1, v1, v3, vcc
	v_add_u32_e32 v3, 1, v1
	v_cmp_le_u32_e32 vcc, s6, v2
	v_cndmask_b32_e32 v1, v1, v3, vcc
	v_mov_b32_e32 v2, 0
.LBB69_9:
	v_mul_lo_u32 v5, v2, s6
	v_mul_lo_u32 v6, v1, s5
	v_mad_u64_u32 v[3:4], s[0:1], v1, s6, 0
	v_mul_lo_u32 v2, v2, s12
	s_mul_i32 s0, s15, s7
	v_add3_u32 v4, v4, v6, v5
	v_sub_co_u32_e32 v3, vcc, v0, v3
	v_mul_lo_u32 v5, v1, s13
	v_mad_u64_u32 v[0:1], s[4:5], v1, s12, 0
	v_subb_co_u32_e32 v4, vcc, 0, v4, vcc
	v_add3_u32 v1, v1, v5, v2
	v_lshlrev_b64 v[2:3], 2, v[3:4]
	s_waitcnt lgkmcnt(0)
	v_mov_b32_e32 v4, s3
	v_add_co_u32_e32 v2, vcc, s2, v2
	v_lshlrev_b64 v[0:1], 2, v[0:1]
	s_mul_hi_u32 s1, s14, s7
	v_addc_co_u32_e32 v3, vcc, v4, v3, vcc
	s_add_i32 s1, s1, s0
	s_mul_i32 s0, s14, s7
	v_add_co_u32_e32 v0, vcc, v2, v0
	s_lshl_b64 s[0:1], s[0:1], 2
	v_addc_co_u32_e32 v1, vcc, v3, v1, vcc
	v_mov_b32_e32 v2, s1
	v_add_co_u32_e32 v0, vcc, s0, v0
	s_cmp_eq_u32 s18, 0
	v_addc_co_u32_e32 v1, vcc, v1, v2, vcc
	s_cbranch_scc1 .LBB69_12
; %bb.10:
	global_load_dword v2, v[0:1], off
	s_waitcnt vmcnt(0)
	v_mul_lo_u32 v2, v2, s18
	s_branch .LBB69_13
.LBB69_11:
                                        ; implicit-def: $vgpr1_vgpr2
	s_branch .LBB69_8
.LBB69_12:
	v_mov_b32_e32 v2, 0
.LBB69_13:
	global_store_dword v[0:1], v2, off
.LBB69_14:
	s_endpgm
	.section	.rodata,"a",@progbits
	.p2align	6, 0x0
	.amdhsa_kernel _ZN9rocsparseL15scale_2d_kernelILj256EliEEvT0_S1_llNS_24const_host_device_scalarIT1_EEPS3_16rocsparse_order_b
		.amdhsa_group_segment_fixed_size 0
		.amdhsa_private_segment_fixed_size 0
		.amdhsa_kernarg_size 56
		.amdhsa_user_sgpr_count 6
		.amdhsa_user_sgpr_private_segment_buffer 1
		.amdhsa_user_sgpr_dispatch_ptr 0
		.amdhsa_user_sgpr_queue_ptr 0
		.amdhsa_user_sgpr_kernarg_segment_ptr 1
		.amdhsa_user_sgpr_dispatch_id 0
		.amdhsa_user_sgpr_flat_scratch_init 0
		.amdhsa_user_sgpr_private_segment_size 0
		.amdhsa_uses_dynamic_stack 0
		.amdhsa_system_sgpr_private_segment_wavefront_offset 0
		.amdhsa_system_sgpr_workgroup_id_x 1
		.amdhsa_system_sgpr_workgroup_id_y 1
		.amdhsa_system_sgpr_workgroup_id_z 0
		.amdhsa_system_sgpr_workgroup_info 0
		.amdhsa_system_vgpr_workitem_id 0
		.amdhsa_next_free_vgpr 11
		.amdhsa_next_free_sgpr 23
		.amdhsa_reserve_vcc 1
		.amdhsa_reserve_flat_scratch 0
		.amdhsa_float_round_mode_32 0
		.amdhsa_float_round_mode_16_64 0
		.amdhsa_float_denorm_mode_32 3
		.amdhsa_float_denorm_mode_16_64 3
		.amdhsa_dx10_clamp 1
		.amdhsa_ieee_mode 1
		.amdhsa_fp16_overflow 0
		.amdhsa_exception_fp_ieee_invalid_op 0
		.amdhsa_exception_fp_denorm_src 0
		.amdhsa_exception_fp_ieee_div_zero 0
		.amdhsa_exception_fp_ieee_overflow 0
		.amdhsa_exception_fp_ieee_underflow 0
		.amdhsa_exception_fp_ieee_inexact 0
		.amdhsa_exception_int_div_zero 0
	.end_amdhsa_kernel
	.section	.text._ZN9rocsparseL15scale_2d_kernelILj256EliEEvT0_S1_llNS_24const_host_device_scalarIT1_EEPS3_16rocsparse_order_b,"axG",@progbits,_ZN9rocsparseL15scale_2d_kernelILj256EliEEvT0_S1_llNS_24const_host_device_scalarIT1_EEPS3_16rocsparse_order_b,comdat
.Lfunc_end69:
	.size	_ZN9rocsparseL15scale_2d_kernelILj256EliEEvT0_S1_llNS_24const_host_device_scalarIT1_EEPS3_16rocsparse_order_b, .Lfunc_end69-_ZN9rocsparseL15scale_2d_kernelILj256EliEEvT0_S1_llNS_24const_host_device_scalarIT1_EEPS3_16rocsparse_order_b
                                        ; -- End function
	.set _ZN9rocsparseL15scale_2d_kernelILj256EliEEvT0_S1_llNS_24const_host_device_scalarIT1_EEPS3_16rocsparse_order_b.num_vgpr, 11
	.set _ZN9rocsparseL15scale_2d_kernelILj256EliEEvT0_S1_llNS_24const_host_device_scalarIT1_EEPS3_16rocsparse_order_b.num_agpr, 0
	.set _ZN9rocsparseL15scale_2d_kernelILj256EliEEvT0_S1_llNS_24const_host_device_scalarIT1_EEPS3_16rocsparse_order_b.numbered_sgpr, 23
	.set _ZN9rocsparseL15scale_2d_kernelILj256EliEEvT0_S1_llNS_24const_host_device_scalarIT1_EEPS3_16rocsparse_order_b.num_named_barrier, 0
	.set _ZN9rocsparseL15scale_2d_kernelILj256EliEEvT0_S1_llNS_24const_host_device_scalarIT1_EEPS3_16rocsparse_order_b.private_seg_size, 0
	.set _ZN9rocsparseL15scale_2d_kernelILj256EliEEvT0_S1_llNS_24const_host_device_scalarIT1_EEPS3_16rocsparse_order_b.uses_vcc, 1
	.set _ZN9rocsparseL15scale_2d_kernelILj256EliEEvT0_S1_llNS_24const_host_device_scalarIT1_EEPS3_16rocsparse_order_b.uses_flat_scratch, 0
	.set _ZN9rocsparseL15scale_2d_kernelILj256EliEEvT0_S1_llNS_24const_host_device_scalarIT1_EEPS3_16rocsparse_order_b.has_dyn_sized_stack, 0
	.set _ZN9rocsparseL15scale_2d_kernelILj256EliEEvT0_S1_llNS_24const_host_device_scalarIT1_EEPS3_16rocsparse_order_b.has_recursion, 0
	.set _ZN9rocsparseL15scale_2d_kernelILj256EliEEvT0_S1_llNS_24const_host_device_scalarIT1_EEPS3_16rocsparse_order_b.has_indirect_call, 0
	.section	.AMDGPU.csdata,"",@progbits
; Kernel info:
; codeLenInByte = 1060
; TotalNumSgprs: 27
; NumVgprs: 11
; ScratchSize: 0
; MemoryBound: 0
; FloatMode: 240
; IeeeMode: 1
; LDSByteSize: 0 bytes/workgroup (compile time only)
; SGPRBlocks: 3
; VGPRBlocks: 2
; NumSGPRsForWavesPerEU: 27
; NumVGPRsForWavesPerEU: 11
; Occupancy: 10
; WaveLimiterHint : 0
; COMPUTE_PGM_RSRC2:SCRATCH_EN: 0
; COMPUTE_PGM_RSRC2:USER_SGPR: 6
; COMPUTE_PGM_RSRC2:TRAP_HANDLER: 0
; COMPUTE_PGM_RSRC2:TGID_X_EN: 1
; COMPUTE_PGM_RSRC2:TGID_Y_EN: 1
; COMPUTE_PGM_RSRC2:TGID_Z_EN: 0
; COMPUTE_PGM_RSRC2:TIDIG_COMP_CNT: 0
	.section	.text._ZN9rocsparseL15scale_2d_kernelILj256ElfEEvT0_S1_llNS_24const_host_device_scalarIT1_EEPS3_16rocsparse_order_b,"axG",@progbits,_ZN9rocsparseL15scale_2d_kernelILj256ElfEEvT0_S1_llNS_24const_host_device_scalarIT1_EEPS3_16rocsparse_order_b,comdat
	.globl	_ZN9rocsparseL15scale_2d_kernelILj256ElfEEvT0_S1_llNS_24const_host_device_scalarIT1_EEPS3_16rocsparse_order_b ; -- Begin function _ZN9rocsparseL15scale_2d_kernelILj256ElfEEvT0_S1_llNS_24const_host_device_scalarIT1_EEPS3_16rocsparse_order_b
	.p2align	8
	.type	_ZN9rocsparseL15scale_2d_kernelILj256ElfEEvT0_S1_llNS_24const_host_device_scalarIT1_EEPS3_16rocsparse_order_b,@function
_ZN9rocsparseL15scale_2d_kernelILj256ElfEEvT0_S1_llNS_24const_host_device_scalarIT1_EEPS3_16rocsparse_order_b: ; @_ZN9rocsparseL15scale_2d_kernelILj256ElfEEvT0_S1_llNS_24const_host_device_scalarIT1_EEPS3_16rocsparse_order_b
; %bb.0:
	s_load_dwordx2 s[0:1], s[4:5], 0x30
	s_load_dwordx2 s[2:3], s[4:5], 0x20
	s_waitcnt lgkmcnt(0)
	s_bitcmp1_b32 s1, 0
	s_cselect_b64 s[8:9], -1, 0
	s_and_b64 vcc, exec, s[8:9]
	s_cbranch_vccnz .LBB70_2
; %bb.1:
	s_load_dword s2, s[2:3], 0x0
.LBB70_2:
	s_waitcnt lgkmcnt(0)
	v_cmp_eq_f32_e64 s[8:9], s2, 1.0
	s_and_b64 vcc, exec, s[8:9]
	s_cbranch_vccnz .LBB70_10
; %bb.3:
	s_load_dwordx8 s[8:15], s[4:5], 0x0
	v_lshl_or_b32 v0, s6, 8, v0
	v_mov_b32_e32 v1, 0
	s_waitcnt lgkmcnt(0)
	s_mul_i32 s1, s10, s9
	s_mul_hi_u32 s3, s10, s8
	s_mul_i32 s6, s11, s8
	s_add_i32 s1, s3, s1
	s_add_i32 s17, s1, s6
	s_mul_i32 s16, s10, s8
	v_cmp_gt_i64_e32 vcc, s[16:17], v[0:1]
	s_and_saveexec_b64 s[16:17], vcc
	s_cbranch_execz .LBB70_10
; %bb.4:
	s_load_dwordx2 s[4:5], s[4:5], 0x28
	s_cmp_eq_u32 s0, 1
	s_cselect_b32 s9, s9, s11
	s_cselect_b32 s3, s8, s10
	s_mov_b32 s8, 0
	s_cmp_lg_u64 s[8:9], 0
	s_cbranch_scc0 .LBB70_11
; %bb.5:
	s_ashr_i32 s10, s9, 31
	s_add_u32 s0, s3, s10
	s_mov_b32 s11, s10
	s_addc_u32 s1, s9, s10
	s_xor_b64 s[16:17], s[0:1], s[10:11]
	v_cvt_f32_u32_e32 v1, s16
	v_cvt_f32_u32_e32 v2, s17
	s_sub_u32 s6, 0, s16
	s_subb_u32 s8, 0, s17
	v_add_co_u32_e32 v5, vcc, 0, v0
	v_madmk_f32 v1, v2, 0x4f800000, v1
	v_rcp_f32_e32 v1, v1
	v_mul_f32_e32 v1, 0x5f7ffffc, v1
	v_mul_f32_e32 v2, 0x2f800000, v1
	v_trunc_f32_e32 v2, v2
	v_madmk_f32 v1, v2, 0xcf800000, v1
	v_cvt_u32_f32_e32 v2, v2
	v_cvt_u32_f32_e32 v1, v1
	v_readfirstlane_b32 s11, v2
	v_readfirstlane_b32 s0, v1
	s_mul_i32 s1, s6, s11
	s_mul_hi_u32 s19, s6, s0
	s_mul_i32 s18, s8, s0
	s_add_i32 s1, s19, s1
	s_add_i32 s1, s1, s18
	s_mul_i32 s20, s6, s0
	s_mul_i32 s19, s0, s1
	s_mul_hi_u32 s21, s0, s20
	s_mul_hi_u32 s18, s0, s1
	s_add_u32 s19, s21, s19
	s_addc_u32 s18, 0, s18
	s_mul_hi_u32 s22, s11, s20
	s_mul_i32 s20, s11, s20
	s_add_u32 s19, s19, s20
	s_mul_hi_u32 s21, s11, s1
	s_addc_u32 s18, s18, s22
	s_addc_u32 s19, s21, 0
	s_mul_i32 s1, s11, s1
	s_add_u32 s1, s18, s1
	s_addc_u32 s18, 0, s19
	s_add_u32 s19, s0, s1
	s_cselect_b64 s[0:1], -1, 0
	s_cmp_lg_u64 s[0:1], 0
	s_addc_u32 s11, s11, s18
	s_mul_i32 s0, s6, s11
	s_mul_hi_u32 s1, s6, s19
	s_add_i32 s0, s1, s0
	s_mul_i32 s8, s8, s19
	s_add_i32 s0, s0, s8
	s_mul_i32 s6, s6, s19
	s_mul_hi_u32 s8, s11, s6
	s_mul_i32 s18, s11, s6
	s_mul_i32 s21, s19, s0
	s_mul_hi_u32 s6, s19, s6
	s_mul_hi_u32 s20, s19, s0
	s_add_u32 s6, s6, s21
	s_addc_u32 s20, 0, s20
	s_add_u32 s6, s6, s18
	s_mul_hi_u32 s1, s11, s0
	s_addc_u32 s6, s20, s8
	s_addc_u32 s1, s1, 0
	s_mul_i32 s0, s11, s0
	s_add_u32 s0, s6, s0
	s_addc_u32 s6, 0, s1
	s_add_u32 s8, s19, s0
	s_cselect_b64 s[0:1], -1, 0
	s_cmp_lg_u64 s[0:1], 0
	s_addc_u32 s6, s11, s6
	v_mad_u64_u32 v[1:2], s[0:1], v5, s6, 0
	v_mul_hi_u32 v3, v5, s8
	v_addc_co_u32_e64 v6, s[0:1], 0, 0, vcc
	v_add_co_u32_e32 v7, vcc, v3, v1
	v_addc_co_u32_e32 v8, vcc, 0, v2, vcc
	v_mad_u64_u32 v[1:2], s[0:1], v6, s8, 0
	v_mad_u64_u32 v[3:4], s[0:1], v6, s6, 0
	v_add_co_u32_e32 v1, vcc, v7, v1
	v_addc_co_u32_e32 v1, vcc, v8, v2, vcc
	v_addc_co_u32_e32 v2, vcc, 0, v4, vcc
	v_add_co_u32_e32 v3, vcc, v1, v3
	v_addc_co_u32_e32 v4, vcc, 0, v2, vcc
	v_mul_lo_u32 v7, s17, v3
	v_mul_lo_u32 v8, s16, v4
	v_mad_u64_u32 v[1:2], s[0:1], s16, v3, 0
	v_add3_u32 v2, v2, v8, v7
	v_sub_u32_e32 v7, v6, v2
	v_mov_b32_e32 v8, s17
	v_sub_co_u32_e32 v1, vcc, v5, v1
	v_subb_co_u32_e64 v5, s[0:1], v7, v8, vcc
	v_subrev_co_u32_e64 v7, s[0:1], s16, v1
	v_subbrev_co_u32_e64 v5, s[0:1], 0, v5, s[0:1]
	v_cmp_le_u32_e64 s[0:1], s17, v5
	v_cndmask_b32_e64 v8, 0, -1, s[0:1]
	v_cmp_le_u32_e64 s[0:1], s16, v7
	v_cndmask_b32_e64 v7, 0, -1, s[0:1]
	v_cmp_eq_u32_e64 s[0:1], s17, v5
	v_cndmask_b32_e64 v5, v8, v7, s[0:1]
	v_add_co_u32_e64 v7, s[0:1], 2, v3
	v_subb_co_u32_e32 v2, vcc, v6, v2, vcc
	v_addc_co_u32_e64 v8, s[0:1], 0, v4, s[0:1]
	v_cmp_le_u32_e32 vcc, s17, v2
	v_add_co_u32_e64 v9, s[0:1], 1, v3
	v_cndmask_b32_e64 v6, 0, -1, vcc
	v_cmp_le_u32_e32 vcc, s16, v1
	v_addc_co_u32_e64 v10, s[0:1], 0, v4, s[0:1]
	v_cndmask_b32_e64 v1, 0, -1, vcc
	v_cmp_eq_u32_e32 vcc, s17, v2
	v_cmp_ne_u32_e64 s[0:1], 0, v5
	v_cndmask_b32_e32 v1, v6, v1, vcc
	v_cndmask_b32_e64 v5, v10, v8, s[0:1]
	v_cmp_ne_u32_e32 vcc, 0, v1
	v_cndmask_b32_e64 v2, v9, v7, s[0:1]
	v_cndmask_b32_e32 v1, v4, v5, vcc
	v_cndmask_b32_e32 v2, v3, v2, vcc
	v_xor_b32_e32 v3, s10, v1
	v_xor_b32_e32 v1, s10, v2
	v_mov_b32_e32 v2, s10
	v_subrev_co_u32_e32 v1, vcc, s10, v1
	v_subb_co_u32_e32 v2, vcc, v3, v2, vcc
	s_cbranch_execnz .LBB70_7
.LBB70_6:
	v_cvt_f32_u32_e32 v1, s3
	s_sub_i32 s0, 0, s3
	v_rcp_iflag_f32_e32 v1, v1
	v_mul_f32_e32 v1, 0x4f7ffffe, v1
	v_cvt_u32_f32_e32 v1, v1
	v_mul_lo_u32 v2, s0, v1
	v_mul_hi_u32 v2, v1, v2
	v_add_u32_e32 v1, v1, v2
	v_mul_hi_u32 v1, v0, v1
	v_mul_lo_u32 v2, v1, s3
	v_add_u32_e32 v3, 1, v1
	v_sub_u32_e32 v2, v0, v2
	v_subrev_u32_e32 v4, s3, v2
	v_cmp_le_u32_e32 vcc, s3, v2
	v_cndmask_b32_e32 v2, v2, v4, vcc
	v_cndmask_b32_e32 v1, v1, v3, vcc
	v_add_u32_e32 v3, 1, v1
	v_cmp_le_u32_e32 vcc, s3, v2
	v_cndmask_b32_e32 v1, v1, v3, vcc
	v_mov_b32_e32 v2, 0
.LBB70_7:
	v_mul_lo_u32 v5, v2, s3
	v_mul_lo_u32 v6, v1, s9
	v_mad_u64_u32 v[3:4], s[0:1], v1, s3, 0
	v_mul_lo_u32 v7, v2, s12
	v_mul_lo_u32 v8, v1, s13
	v_add3_u32 v6, v4, v6, v5
	v_mad_u64_u32 v[4:5], s[0:1], v1, s12, 0
	v_sub_co_u32_e32 v0, vcc, v0, v3
	v_subb_co_u32_e32 v1, vcc, 0, v6, vcc
	v_lshlrev_b64 v[0:1], 2, v[0:1]
	v_add3_u32 v5, v5, v8, v7
	s_waitcnt lgkmcnt(0)
	v_mov_b32_e32 v3, s5
	v_add_co_u32_e32 v6, vcc, s4, v0
	v_addc_co_u32_e32 v3, vcc, v3, v1, vcc
	v_lshlrev_b64 v[0:1], 2, v[4:5]
	s_mul_i32 s3, s15, s7
	s_mul_hi_u32 s6, s14, s7
	s_add_i32 s9, s6, s3
	s_mul_i32 s8, s14, s7
	v_add_co_u32_e32 v0, vcc, v6, v0
	v_addc_co_u32_e32 v1, vcc, v3, v1, vcc
	s_lshl_b64 s[4:5], s[8:9], 2
	v_mov_b32_e32 v3, s5
	v_add_co_u32_e32 v0, vcc, s4, v0
	v_cmp_eq_f32_e64 s[0:1], s2, 0
	v_addc_co_u32_e32 v1, vcc, v1, v3, vcc
	v_mov_b32_e32 v2, 0
	s_and_b64 vcc, exec, s[0:1]
	s_cbranch_vccnz .LBB70_9
; %bb.8:
	global_load_dword v2, v[0:1], off
	s_waitcnt vmcnt(0)
	v_mul_f32_e32 v2, s2, v2
.LBB70_9:
	global_store_dword v[0:1], v2, off
.LBB70_10:
	s_endpgm
.LBB70_11:
                                        ; implicit-def: $vgpr1_vgpr2
	s_branch .LBB70_6
	.section	.rodata,"a",@progbits
	.p2align	6, 0x0
	.amdhsa_kernel _ZN9rocsparseL15scale_2d_kernelILj256ElfEEvT0_S1_llNS_24const_host_device_scalarIT1_EEPS3_16rocsparse_order_b
		.amdhsa_group_segment_fixed_size 0
		.amdhsa_private_segment_fixed_size 0
		.amdhsa_kernarg_size 56
		.amdhsa_user_sgpr_count 6
		.amdhsa_user_sgpr_private_segment_buffer 1
		.amdhsa_user_sgpr_dispatch_ptr 0
		.amdhsa_user_sgpr_queue_ptr 0
		.amdhsa_user_sgpr_kernarg_segment_ptr 1
		.amdhsa_user_sgpr_dispatch_id 0
		.amdhsa_user_sgpr_flat_scratch_init 0
		.amdhsa_user_sgpr_private_segment_size 0
		.amdhsa_uses_dynamic_stack 0
		.amdhsa_system_sgpr_private_segment_wavefront_offset 0
		.amdhsa_system_sgpr_workgroup_id_x 1
		.amdhsa_system_sgpr_workgroup_id_y 1
		.amdhsa_system_sgpr_workgroup_id_z 0
		.amdhsa_system_sgpr_workgroup_info 0
		.amdhsa_system_vgpr_workitem_id 0
		.amdhsa_next_free_vgpr 11
		.amdhsa_next_free_sgpr 23
		.amdhsa_reserve_vcc 1
		.amdhsa_reserve_flat_scratch 0
		.amdhsa_float_round_mode_32 0
		.amdhsa_float_round_mode_16_64 0
		.amdhsa_float_denorm_mode_32 3
		.amdhsa_float_denorm_mode_16_64 3
		.amdhsa_dx10_clamp 1
		.amdhsa_ieee_mode 1
		.amdhsa_fp16_overflow 0
		.amdhsa_exception_fp_ieee_invalid_op 0
		.amdhsa_exception_fp_denorm_src 0
		.amdhsa_exception_fp_ieee_div_zero 0
		.amdhsa_exception_fp_ieee_overflow 0
		.amdhsa_exception_fp_ieee_underflow 0
		.amdhsa_exception_fp_ieee_inexact 0
		.amdhsa_exception_int_div_zero 0
	.end_amdhsa_kernel
	.section	.text._ZN9rocsparseL15scale_2d_kernelILj256ElfEEvT0_S1_llNS_24const_host_device_scalarIT1_EEPS3_16rocsparse_order_b,"axG",@progbits,_ZN9rocsparseL15scale_2d_kernelILj256ElfEEvT0_S1_llNS_24const_host_device_scalarIT1_EEPS3_16rocsparse_order_b,comdat
.Lfunc_end70:
	.size	_ZN9rocsparseL15scale_2d_kernelILj256ElfEEvT0_S1_llNS_24const_host_device_scalarIT1_EEPS3_16rocsparse_order_b, .Lfunc_end70-_ZN9rocsparseL15scale_2d_kernelILj256ElfEEvT0_S1_llNS_24const_host_device_scalarIT1_EEPS3_16rocsparse_order_b
                                        ; -- End function
	.set _ZN9rocsparseL15scale_2d_kernelILj256ElfEEvT0_S1_llNS_24const_host_device_scalarIT1_EEPS3_16rocsparse_order_b.num_vgpr, 11
	.set _ZN9rocsparseL15scale_2d_kernelILj256ElfEEvT0_S1_llNS_24const_host_device_scalarIT1_EEPS3_16rocsparse_order_b.num_agpr, 0
	.set _ZN9rocsparseL15scale_2d_kernelILj256ElfEEvT0_S1_llNS_24const_host_device_scalarIT1_EEPS3_16rocsparse_order_b.numbered_sgpr, 23
	.set _ZN9rocsparseL15scale_2d_kernelILj256ElfEEvT0_S1_llNS_24const_host_device_scalarIT1_EEPS3_16rocsparse_order_b.num_named_barrier, 0
	.set _ZN9rocsparseL15scale_2d_kernelILj256ElfEEvT0_S1_llNS_24const_host_device_scalarIT1_EEPS3_16rocsparse_order_b.private_seg_size, 0
	.set _ZN9rocsparseL15scale_2d_kernelILj256ElfEEvT0_S1_llNS_24const_host_device_scalarIT1_EEPS3_16rocsparse_order_b.uses_vcc, 1
	.set _ZN9rocsparseL15scale_2d_kernelILj256ElfEEvT0_S1_llNS_24const_host_device_scalarIT1_EEPS3_16rocsparse_order_b.uses_flat_scratch, 0
	.set _ZN9rocsparseL15scale_2d_kernelILj256ElfEEvT0_S1_llNS_24const_host_device_scalarIT1_EEPS3_16rocsparse_order_b.has_dyn_sized_stack, 0
	.set _ZN9rocsparseL15scale_2d_kernelILj256ElfEEvT0_S1_llNS_24const_host_device_scalarIT1_EEPS3_16rocsparse_order_b.has_recursion, 0
	.set _ZN9rocsparseL15scale_2d_kernelILj256ElfEEvT0_S1_llNS_24const_host_device_scalarIT1_EEPS3_16rocsparse_order_b.has_indirect_call, 0
	.section	.AMDGPU.csdata,"",@progbits
; Kernel info:
; codeLenInByte = 1060
; TotalNumSgprs: 27
; NumVgprs: 11
; ScratchSize: 0
; MemoryBound: 0
; FloatMode: 240
; IeeeMode: 1
; LDSByteSize: 0 bytes/workgroup (compile time only)
; SGPRBlocks: 3
; VGPRBlocks: 2
; NumSGPRsForWavesPerEU: 27
; NumVGPRsForWavesPerEU: 11
; Occupancy: 10
; WaveLimiterHint : 0
; COMPUTE_PGM_RSRC2:SCRATCH_EN: 0
; COMPUTE_PGM_RSRC2:USER_SGPR: 6
; COMPUTE_PGM_RSRC2:TRAP_HANDLER: 0
; COMPUTE_PGM_RSRC2:TGID_X_EN: 1
; COMPUTE_PGM_RSRC2:TGID_Y_EN: 1
; COMPUTE_PGM_RSRC2:TGID_Z_EN: 0
; COMPUTE_PGM_RSRC2:TIDIG_COMP_CNT: 0
	.section	.text._ZN9rocsparseL15scale_2d_kernelILj256EldEEvT0_S1_llNS_24const_host_device_scalarIT1_EEPS3_16rocsparse_order_b,"axG",@progbits,_ZN9rocsparseL15scale_2d_kernelILj256EldEEvT0_S1_llNS_24const_host_device_scalarIT1_EEPS3_16rocsparse_order_b,comdat
	.globl	_ZN9rocsparseL15scale_2d_kernelILj256EldEEvT0_S1_llNS_24const_host_device_scalarIT1_EEPS3_16rocsparse_order_b ; -- Begin function _ZN9rocsparseL15scale_2d_kernelILj256EldEEvT0_S1_llNS_24const_host_device_scalarIT1_EEPS3_16rocsparse_order_b
	.p2align	8
	.type	_ZN9rocsparseL15scale_2d_kernelILj256EldEEvT0_S1_llNS_24const_host_device_scalarIT1_EEPS3_16rocsparse_order_b,@function
_ZN9rocsparseL15scale_2d_kernelILj256EldEEvT0_S1_llNS_24const_host_device_scalarIT1_EEPS3_16rocsparse_order_b: ; @_ZN9rocsparseL15scale_2d_kernelILj256EldEEvT0_S1_llNS_24const_host_device_scalarIT1_EEPS3_16rocsparse_order_b
; %bb.0:
	s_load_dwordx2 s[0:1], s[4:5], 0x30
	s_load_dwordx2 s[2:3], s[4:5], 0x20
	s_waitcnt lgkmcnt(0)
	s_bitcmp1_b32 s1, 0
	s_cselect_b64 s[8:9], -1, 0
	v_mov_b32_e32 v1, s2
	s_and_b64 vcc, exec, s[8:9]
	v_mov_b32_e32 v2, s3
	s_cbranch_vccnz .LBB71_2
; %bb.1:
	v_mov_b32_e32 v1, s2
	v_mov_b32_e32 v2, s3
	flat_load_dwordx2 v[1:2], v[1:2]
.LBB71_2:
	s_waitcnt vmcnt(0) lgkmcnt(0)
	v_cmp_neq_f64_e32 vcc, 1.0, v[1:2]
	s_and_saveexec_b64 s[2:3], vcc
	s_cbranch_execz .LBB71_10
; %bb.3:
	s_load_dwordx8 s[8:15], s[4:5], 0x0
	v_lshl_or_b32 v3, s6, 8, v0
	v_mov_b32_e32 v4, 0
	s_waitcnt lgkmcnt(0)
	s_mul_i32 s1, s10, s9
	s_mul_hi_u32 s2, s10, s8
	s_mul_i32 s3, s11, s8
	s_add_i32 s1, s2, s1
	s_add_i32 s3, s1, s3
	s_mul_i32 s2, s10, s8
	v_cmp_gt_i64_e32 vcc, s[2:3], v[3:4]
	s_and_b64 exec, exec, vcc
	s_cbranch_execz .LBB71_10
; %bb.4:
	s_load_dwordx2 s[2:3], s[4:5], 0x28
	s_cmp_eq_u32 s0, 1
	s_cselect_b32 s5, s9, s11
	s_mov_b32 s4, 0
	s_cselect_b32 s6, s8, s10
	s_cmp_lg_u64 s[4:5], 0
	s_cbranch_scc0 .LBB71_11
; %bb.5:
	s_ashr_i32 s8, s5, 31
	s_add_u32 s0, s6, s8
	s_mov_b32 s9, s8
	s_addc_u32 s1, s5, s8
	s_xor_b64 s[10:11], s[0:1], s[8:9]
	v_cvt_f32_u32_e32 v0, s10
	v_cvt_f32_u32_e32 v4, s11
	s_sub_u32 s4, 0, s10
	s_subb_u32 s9, 0, s11
	v_madmk_f32 v0, v4, 0x4f800000, v0
	v_rcp_f32_e32 v0, v0
	v_mul_f32_e32 v0, 0x5f7ffffc, v0
	v_mul_f32_e32 v4, 0x2f800000, v0
	v_trunc_f32_e32 v4, v4
	v_madmk_f32 v0, v4, 0xcf800000, v0
	v_cvt_u32_f32_e32 v4, v4
	v_cvt_u32_f32_e32 v0, v0
	v_readfirstlane_b32 s16, v4
	v_readfirstlane_b32 s0, v0
	s_mul_i32 s1, s4, s16
	s_mul_hi_u32 s18, s4, s0
	s_mul_i32 s17, s9, s0
	s_add_i32 s1, s18, s1
	s_add_i32 s1, s1, s17
	s_mul_i32 s19, s4, s0
	s_mul_i32 s18, s0, s1
	s_mul_hi_u32 s20, s0, s19
	s_mul_hi_u32 s17, s0, s1
	s_add_u32 s18, s20, s18
	s_addc_u32 s17, 0, s17
	s_mul_hi_u32 s21, s16, s19
	s_mul_i32 s19, s16, s19
	s_add_u32 s18, s18, s19
	s_mul_hi_u32 s20, s16, s1
	s_addc_u32 s17, s17, s21
	s_addc_u32 s18, s20, 0
	s_mul_i32 s1, s16, s1
	s_add_u32 s1, s17, s1
	s_addc_u32 s17, 0, s18
	s_add_u32 s18, s0, s1
	s_cselect_b64 s[0:1], -1, 0
	s_cmp_lg_u64 s[0:1], 0
	s_addc_u32 s16, s16, s17
	s_mul_i32 s0, s4, s16
	s_mul_hi_u32 s1, s4, s18
	s_add_i32 s0, s1, s0
	s_mul_i32 s9, s9, s18
	s_add_i32 s0, s0, s9
	s_mul_i32 s4, s4, s18
	s_mul_hi_u32 s9, s16, s4
	s_mul_i32 s17, s16, s4
	s_mul_i32 s20, s18, s0
	s_mul_hi_u32 s4, s18, s4
	s_mul_hi_u32 s19, s18, s0
	s_add_u32 s4, s4, s20
	s_addc_u32 s19, 0, s19
	s_add_u32 s4, s4, s17
	s_mul_hi_u32 s1, s16, s0
	s_addc_u32 s4, s19, s9
	s_addc_u32 s1, s1, 0
	s_mul_i32 s0, s16, s0
	s_add_u32 s0, s4, s0
	s_addc_u32 s4, 0, s1
	s_add_u32 s9, s18, s0
	s_cselect_b64 s[0:1], -1, 0
	s_cmp_lg_u64 s[0:1], 0
	s_addc_u32 s4, s16, s4
	v_add_co_u32_e32 v0, vcc, 0, v3
	v_mad_u64_u32 v[4:5], s[0:1], v0, s4, 0
	v_mul_hi_u32 v6, v0, s9
	v_addc_co_u32_e64 v8, s[0:1], 0, 0, vcc
	v_add_co_u32_e32 v9, vcc, v6, v4
	v_addc_co_u32_e32 v10, vcc, 0, v5, vcc
	v_mad_u64_u32 v[4:5], s[0:1], v8, s9, 0
	v_mad_u64_u32 v[6:7], s[0:1], v8, s4, 0
	v_add_co_u32_e32 v4, vcc, v9, v4
	v_addc_co_u32_e32 v4, vcc, v10, v5, vcc
	v_addc_co_u32_e32 v5, vcc, 0, v7, vcc
	v_add_co_u32_e32 v6, vcc, v4, v6
	v_addc_co_u32_e32 v7, vcc, 0, v5, vcc
	v_mul_lo_u32 v9, s11, v6
	v_mul_lo_u32 v10, s10, v7
	v_mad_u64_u32 v[4:5], s[0:1], s10, v6, 0
	v_add3_u32 v5, v5, v10, v9
	v_sub_u32_e32 v9, v8, v5
	v_mov_b32_e32 v10, s11
	v_sub_co_u32_e32 v0, vcc, v0, v4
	v_subb_co_u32_e64 v4, s[0:1], v9, v10, vcc
	v_subrev_co_u32_e64 v9, s[0:1], s10, v0
	v_subbrev_co_u32_e64 v4, s[0:1], 0, v4, s[0:1]
	v_cmp_le_u32_e64 s[0:1], s11, v4
	v_cndmask_b32_e64 v10, 0, -1, s[0:1]
	v_cmp_le_u32_e64 s[0:1], s10, v9
	v_cndmask_b32_e64 v9, 0, -1, s[0:1]
	v_cmp_eq_u32_e64 s[0:1], s11, v4
	v_cndmask_b32_e64 v4, v10, v9, s[0:1]
	v_add_co_u32_e64 v9, s[0:1], 2, v6
	v_subb_co_u32_e32 v5, vcc, v8, v5, vcc
	v_addc_co_u32_e64 v10, s[0:1], 0, v7, s[0:1]
	v_cmp_le_u32_e32 vcc, s11, v5
	v_add_co_u32_e64 v11, s[0:1], 1, v6
	v_cndmask_b32_e64 v8, 0, -1, vcc
	v_cmp_le_u32_e32 vcc, s10, v0
	v_addc_co_u32_e64 v12, s[0:1], 0, v7, s[0:1]
	v_cndmask_b32_e64 v0, 0, -1, vcc
	v_cmp_eq_u32_e32 vcc, s11, v5
	v_cmp_ne_u32_e64 s[0:1], 0, v4
	v_cndmask_b32_e32 v0, v8, v0, vcc
	v_cndmask_b32_e64 v4, v12, v10, s[0:1]
	v_cmp_ne_u32_e32 vcc, 0, v0
	v_cndmask_b32_e32 v0, v7, v4, vcc
	v_cndmask_b32_e64 v4, v11, v9, s[0:1]
	v_cndmask_b32_e32 v4, v6, v4, vcc
	v_xor_b32_e32 v4, s8, v4
	v_xor_b32_e32 v0, s8, v0
	v_mov_b32_e32 v5, s8
	v_subrev_co_u32_e32 v4, vcc, s8, v4
	v_subb_co_u32_e32 v5, vcc, v0, v5, vcc
	s_cbranch_execnz .LBB71_7
.LBB71_6:
	v_cvt_f32_u32_e32 v0, s6
	s_sub_i32 s0, 0, s6
	v_rcp_iflag_f32_e32 v0, v0
	v_mul_f32_e32 v0, 0x4f7ffffe, v0
	v_cvt_u32_f32_e32 v0, v0
	v_mul_lo_u32 v4, s0, v0
	v_mul_hi_u32 v4, v0, v4
	v_add_u32_e32 v0, v0, v4
	v_mul_hi_u32 v0, v3, v0
	v_mul_lo_u32 v4, v0, s6
	v_add_u32_e32 v5, 1, v0
	v_sub_u32_e32 v4, v3, v4
	v_subrev_u32_e32 v6, s6, v4
	v_cmp_le_u32_e32 vcc, s6, v4
	v_cndmask_b32_e32 v4, v4, v6, vcc
	v_cndmask_b32_e32 v0, v0, v5, vcc
	v_add_u32_e32 v5, 1, v0
	v_cmp_le_u32_e32 vcc, s6, v4
	v_cndmask_b32_e32 v4, v0, v5, vcc
	v_mov_b32_e32 v5, 0
.LBB71_7:
	v_mul_lo_u32 v0, v5, s6
	v_mul_lo_u32 v8, v4, s5
	v_mad_u64_u32 v[6:7], s[0:1], v4, s6, 0
	v_mul_lo_u32 v9, v5, s12
	v_mul_lo_u32 v10, v4, s13
	v_add3_u32 v0, v7, v8, v0
	v_mad_u64_u32 v[7:8], s[0:1], v4, s12, 0
	v_sub_co_u32_e32 v5, vcc, v3, v6
	v_subb_co_u32_e32 v6, vcc, 0, v0, vcc
	v_lshlrev_b64 v[5:6], 3, v[5:6]
	s_mul_i32 s0, s15, s7
	s_mul_hi_u32 s1, s14, s7
	v_cmp_neq_f64_e32 vcc, 0, v[1:2]
	v_add3_u32 v8, v8, v10, v9
	s_add_i32 s5, s1, s0
	s_waitcnt lgkmcnt(0)
	v_mov_b32_e32 v0, s3
	v_add_co_u32_e64 v9, s[0:1], s2, v5
	v_addc_co_u32_e64 v0, s[0:1], v0, v6, s[0:1]
	v_lshlrev_b64 v[5:6], 3, v[7:8]
	s_mul_i32 s4, s14, s7
	v_add_co_u32_e64 v5, s[0:1], v9, v5
	v_addc_co_u32_e64 v0, s[0:1], v0, v6, s[0:1]
	s_lshl_b64 s[0:1], s[4:5], 3
	v_mov_b32_e32 v3, 0
	v_mov_b32_e32 v6, s1
	v_add_co_u32_e64 v5, s[0:1], s0, v5
	v_mov_b32_e32 v4, 0
	v_addc_co_u32_e64 v6, s[0:1], v0, v6, s[0:1]
	s_and_saveexec_b64 s[0:1], vcc
	s_cbranch_execz .LBB71_9
; %bb.8:
	global_load_dwordx2 v[3:4], v[5:6], off
	s_waitcnt vmcnt(0)
	v_mul_f64 v[3:4], v[1:2], v[3:4]
.LBB71_9:
	s_or_b64 exec, exec, s[0:1]
	global_store_dwordx2 v[5:6], v[3:4], off
.LBB71_10:
	s_endpgm
.LBB71_11:
                                        ; implicit-def: $vgpr4_vgpr5
	s_branch .LBB71_6
	.section	.rodata,"a",@progbits
	.p2align	6, 0x0
	.amdhsa_kernel _ZN9rocsparseL15scale_2d_kernelILj256EldEEvT0_S1_llNS_24const_host_device_scalarIT1_EEPS3_16rocsparse_order_b
		.amdhsa_group_segment_fixed_size 0
		.amdhsa_private_segment_fixed_size 0
		.amdhsa_kernarg_size 56
		.amdhsa_user_sgpr_count 6
		.amdhsa_user_sgpr_private_segment_buffer 1
		.amdhsa_user_sgpr_dispatch_ptr 0
		.amdhsa_user_sgpr_queue_ptr 0
		.amdhsa_user_sgpr_kernarg_segment_ptr 1
		.amdhsa_user_sgpr_dispatch_id 0
		.amdhsa_user_sgpr_flat_scratch_init 0
		.amdhsa_user_sgpr_private_segment_size 0
		.amdhsa_uses_dynamic_stack 0
		.amdhsa_system_sgpr_private_segment_wavefront_offset 0
		.amdhsa_system_sgpr_workgroup_id_x 1
		.amdhsa_system_sgpr_workgroup_id_y 1
		.amdhsa_system_sgpr_workgroup_id_z 0
		.amdhsa_system_sgpr_workgroup_info 0
		.amdhsa_system_vgpr_workitem_id 0
		.amdhsa_next_free_vgpr 13
		.amdhsa_next_free_sgpr 22
		.amdhsa_reserve_vcc 1
		.amdhsa_reserve_flat_scratch 0
		.amdhsa_float_round_mode_32 0
		.amdhsa_float_round_mode_16_64 0
		.amdhsa_float_denorm_mode_32 3
		.amdhsa_float_denorm_mode_16_64 3
		.amdhsa_dx10_clamp 1
		.amdhsa_ieee_mode 1
		.amdhsa_fp16_overflow 0
		.amdhsa_exception_fp_ieee_invalid_op 0
		.amdhsa_exception_fp_denorm_src 0
		.amdhsa_exception_fp_ieee_div_zero 0
		.amdhsa_exception_fp_ieee_overflow 0
		.amdhsa_exception_fp_ieee_underflow 0
		.amdhsa_exception_fp_ieee_inexact 0
		.amdhsa_exception_int_div_zero 0
	.end_amdhsa_kernel
	.section	.text._ZN9rocsparseL15scale_2d_kernelILj256EldEEvT0_S1_llNS_24const_host_device_scalarIT1_EEPS3_16rocsparse_order_b,"axG",@progbits,_ZN9rocsparseL15scale_2d_kernelILj256EldEEvT0_S1_llNS_24const_host_device_scalarIT1_EEPS3_16rocsparse_order_b,comdat
.Lfunc_end71:
	.size	_ZN9rocsparseL15scale_2d_kernelILj256EldEEvT0_S1_llNS_24const_host_device_scalarIT1_EEPS3_16rocsparse_order_b, .Lfunc_end71-_ZN9rocsparseL15scale_2d_kernelILj256EldEEvT0_S1_llNS_24const_host_device_scalarIT1_EEPS3_16rocsparse_order_b
                                        ; -- End function
	.set _ZN9rocsparseL15scale_2d_kernelILj256EldEEvT0_S1_llNS_24const_host_device_scalarIT1_EEPS3_16rocsparse_order_b.num_vgpr, 13
	.set _ZN9rocsparseL15scale_2d_kernelILj256EldEEvT0_S1_llNS_24const_host_device_scalarIT1_EEPS3_16rocsparse_order_b.num_agpr, 0
	.set _ZN9rocsparseL15scale_2d_kernelILj256EldEEvT0_S1_llNS_24const_host_device_scalarIT1_EEPS3_16rocsparse_order_b.numbered_sgpr, 22
	.set _ZN9rocsparseL15scale_2d_kernelILj256EldEEvT0_S1_llNS_24const_host_device_scalarIT1_EEPS3_16rocsparse_order_b.num_named_barrier, 0
	.set _ZN9rocsparseL15scale_2d_kernelILj256EldEEvT0_S1_llNS_24const_host_device_scalarIT1_EEPS3_16rocsparse_order_b.private_seg_size, 0
	.set _ZN9rocsparseL15scale_2d_kernelILj256EldEEvT0_S1_llNS_24const_host_device_scalarIT1_EEPS3_16rocsparse_order_b.uses_vcc, 1
	.set _ZN9rocsparseL15scale_2d_kernelILj256EldEEvT0_S1_llNS_24const_host_device_scalarIT1_EEPS3_16rocsparse_order_b.uses_flat_scratch, 0
	.set _ZN9rocsparseL15scale_2d_kernelILj256EldEEvT0_S1_llNS_24const_host_device_scalarIT1_EEPS3_16rocsparse_order_b.has_dyn_sized_stack, 0
	.set _ZN9rocsparseL15scale_2d_kernelILj256EldEEvT0_S1_llNS_24const_host_device_scalarIT1_EEPS3_16rocsparse_order_b.has_recursion, 0
	.set _ZN9rocsparseL15scale_2d_kernelILj256EldEEvT0_S1_llNS_24const_host_device_scalarIT1_EEPS3_16rocsparse_order_b.has_indirect_call, 0
	.section	.AMDGPU.csdata,"",@progbits
; Kernel info:
; codeLenInByte = 1104
; TotalNumSgprs: 26
; NumVgprs: 13
; ScratchSize: 0
; MemoryBound: 1
; FloatMode: 240
; IeeeMode: 1
; LDSByteSize: 0 bytes/workgroup (compile time only)
; SGPRBlocks: 3
; VGPRBlocks: 3
; NumSGPRsForWavesPerEU: 26
; NumVGPRsForWavesPerEU: 13
; Occupancy: 10
; WaveLimiterHint : 0
; COMPUTE_PGM_RSRC2:SCRATCH_EN: 0
; COMPUTE_PGM_RSRC2:USER_SGPR: 6
; COMPUTE_PGM_RSRC2:TRAP_HANDLER: 0
; COMPUTE_PGM_RSRC2:TGID_X_EN: 1
; COMPUTE_PGM_RSRC2:TGID_Y_EN: 1
; COMPUTE_PGM_RSRC2:TGID_Z_EN: 0
; COMPUTE_PGM_RSRC2:TIDIG_COMP_CNT: 0
	.section	.text._ZN9rocsparseL15scale_2d_kernelILj256El21rocsparse_complex_numIfEEEvT0_S3_llNS_24const_host_device_scalarIT1_EEPS5_16rocsparse_order_b,"axG",@progbits,_ZN9rocsparseL15scale_2d_kernelILj256El21rocsparse_complex_numIfEEEvT0_S3_llNS_24const_host_device_scalarIT1_EEPS5_16rocsparse_order_b,comdat
	.globl	_ZN9rocsparseL15scale_2d_kernelILj256El21rocsparse_complex_numIfEEEvT0_S3_llNS_24const_host_device_scalarIT1_EEPS5_16rocsparse_order_b ; -- Begin function _ZN9rocsparseL15scale_2d_kernelILj256El21rocsparse_complex_numIfEEEvT0_S3_llNS_24const_host_device_scalarIT1_EEPS5_16rocsparse_order_b
	.p2align	8
	.type	_ZN9rocsparseL15scale_2d_kernelILj256El21rocsparse_complex_numIfEEEvT0_S3_llNS_24const_host_device_scalarIT1_EEPS5_16rocsparse_order_b,@function
_ZN9rocsparseL15scale_2d_kernelILj256El21rocsparse_complex_numIfEEEvT0_S3_llNS_24const_host_device_scalarIT1_EEPS5_16rocsparse_order_b: ; @_ZN9rocsparseL15scale_2d_kernelILj256El21rocsparse_complex_numIfEEEvT0_S3_llNS_24const_host_device_scalarIT1_EEPS5_16rocsparse_order_b
; %bb.0:
	s_load_dwordx2 s[16:17], s[4:5], 0x30
	s_load_dwordx2 s[0:1], s[4:5], 0x20
	s_add_u32 s2, s4, 32
	s_addc_u32 s3, s5, 0
	s_waitcnt lgkmcnt(0)
	s_bitcmp1_b32 s17, 0
	s_cselect_b32 s1, s3, s1
	s_cselect_b32 s0, s2, s0
	v_mov_b32_e32 v1, s0
	v_mov_b32_e32 v2, s1
	flat_load_dwordx2 v[1:2], v[1:2]
	s_waitcnt vmcnt(0) lgkmcnt(0)
	v_cmp_neq_f32_e32 vcc, 1.0, v1
	v_cmp_neq_f32_e64 s[0:1], 0, v2
	s_or_b64 s[0:1], vcc, s[0:1]
	s_and_saveexec_b64 s[2:3], s[0:1]
	s_cbranch_execz .LBB72_9
; %bb.1:
	s_load_dwordx8 s[8:15], s[4:5], 0x0
	v_lshl_or_b32 v3, s6, 8, v0
	v_mov_b32_e32 v4, 0
	s_waitcnt lgkmcnt(0)
	s_mul_i32 s0, s10, s9
	s_mul_hi_u32 s1, s10, s8
	s_mul_i32 s2, s11, s8
	s_add_i32 s0, s1, s0
	s_add_i32 s1, s0, s2
	s_mul_i32 s0, s10, s8
	v_cmp_gt_i64_e32 vcc, s[0:1], v[3:4]
	s_and_b64 exec, exec, vcc
	s_cbranch_execz .LBB72_9
; %bb.2:
	s_load_dwordx2 s[2:3], s[4:5], 0x28
	s_cmp_eq_u32 s16, 1
	s_cselect_b32 s5, s9, s11
	s_mov_b32 s4, 0
	s_cselect_b32 s6, s8, s10
	s_cmp_lg_u64 s[4:5], 0
	s_cbranch_scc0 .LBB72_10
; %bb.3:
	s_ashr_i32 s8, s5, 31
	s_add_u32 s0, s6, s8
	s_mov_b32 s9, s8
	s_addc_u32 s1, s5, s8
	s_xor_b64 s[10:11], s[0:1], s[8:9]
	v_cvt_f32_u32_e32 v0, s10
	v_cvt_f32_u32_e32 v4, s11
	s_sub_u32 s4, 0, s10
	s_subb_u32 s9, 0, s11
	v_madmk_f32 v0, v4, 0x4f800000, v0
	v_rcp_f32_e32 v0, v0
	v_mul_f32_e32 v0, 0x5f7ffffc, v0
	v_mul_f32_e32 v4, 0x2f800000, v0
	v_trunc_f32_e32 v4, v4
	v_madmk_f32 v0, v4, 0xcf800000, v0
	v_cvt_u32_f32_e32 v4, v4
	v_cvt_u32_f32_e32 v0, v0
	v_readfirstlane_b32 s16, v4
	v_readfirstlane_b32 s0, v0
	s_mul_i32 s1, s4, s16
	s_mul_hi_u32 s18, s4, s0
	s_mul_i32 s17, s9, s0
	s_add_i32 s1, s18, s1
	s_add_i32 s1, s1, s17
	s_mul_i32 s19, s4, s0
	s_mul_i32 s18, s0, s1
	s_mul_hi_u32 s20, s0, s19
	s_mul_hi_u32 s17, s0, s1
	s_add_u32 s18, s20, s18
	s_addc_u32 s17, 0, s17
	s_mul_hi_u32 s21, s16, s19
	s_mul_i32 s19, s16, s19
	s_add_u32 s18, s18, s19
	s_mul_hi_u32 s20, s16, s1
	s_addc_u32 s17, s17, s21
	s_addc_u32 s18, s20, 0
	s_mul_i32 s1, s16, s1
	s_add_u32 s1, s17, s1
	s_addc_u32 s17, 0, s18
	s_add_u32 s18, s0, s1
	s_cselect_b64 s[0:1], -1, 0
	s_cmp_lg_u64 s[0:1], 0
	s_addc_u32 s16, s16, s17
	s_mul_i32 s0, s4, s16
	s_mul_hi_u32 s1, s4, s18
	s_add_i32 s0, s1, s0
	s_mul_i32 s9, s9, s18
	s_add_i32 s0, s0, s9
	s_mul_i32 s4, s4, s18
	s_mul_hi_u32 s9, s16, s4
	s_mul_i32 s17, s16, s4
	s_mul_i32 s20, s18, s0
	s_mul_hi_u32 s4, s18, s4
	s_mul_hi_u32 s19, s18, s0
	s_add_u32 s4, s4, s20
	s_addc_u32 s19, 0, s19
	s_add_u32 s4, s4, s17
	s_mul_hi_u32 s1, s16, s0
	s_addc_u32 s4, s19, s9
	s_addc_u32 s1, s1, 0
	s_mul_i32 s0, s16, s0
	s_add_u32 s0, s4, s0
	s_addc_u32 s4, 0, s1
	s_add_u32 s9, s18, s0
	s_cselect_b64 s[0:1], -1, 0
	s_cmp_lg_u64 s[0:1], 0
	s_addc_u32 s4, s16, s4
	v_add_co_u32_e32 v0, vcc, 0, v3
	v_mad_u64_u32 v[4:5], s[0:1], v0, s4, 0
	v_mul_hi_u32 v6, v0, s9
	v_addc_co_u32_e64 v8, s[0:1], 0, 0, vcc
	v_add_co_u32_e32 v9, vcc, v6, v4
	v_addc_co_u32_e32 v10, vcc, 0, v5, vcc
	v_mad_u64_u32 v[4:5], s[0:1], v8, s9, 0
	v_mad_u64_u32 v[6:7], s[0:1], v8, s4, 0
	v_add_co_u32_e32 v4, vcc, v9, v4
	v_addc_co_u32_e32 v4, vcc, v10, v5, vcc
	v_addc_co_u32_e32 v5, vcc, 0, v7, vcc
	v_add_co_u32_e32 v6, vcc, v4, v6
	v_addc_co_u32_e32 v7, vcc, 0, v5, vcc
	v_mul_lo_u32 v9, s11, v6
	v_mul_lo_u32 v10, s10, v7
	v_mad_u64_u32 v[4:5], s[0:1], s10, v6, 0
	v_add3_u32 v5, v5, v10, v9
	v_sub_u32_e32 v9, v8, v5
	v_mov_b32_e32 v10, s11
	v_sub_co_u32_e32 v0, vcc, v0, v4
	v_subb_co_u32_e64 v4, s[0:1], v9, v10, vcc
	v_subrev_co_u32_e64 v9, s[0:1], s10, v0
	v_subbrev_co_u32_e64 v4, s[0:1], 0, v4, s[0:1]
	v_cmp_le_u32_e64 s[0:1], s11, v4
	v_cndmask_b32_e64 v10, 0, -1, s[0:1]
	v_cmp_le_u32_e64 s[0:1], s10, v9
	v_cndmask_b32_e64 v9, 0, -1, s[0:1]
	v_cmp_eq_u32_e64 s[0:1], s11, v4
	v_cndmask_b32_e64 v4, v10, v9, s[0:1]
	v_add_co_u32_e64 v9, s[0:1], 2, v6
	v_subb_co_u32_e32 v5, vcc, v8, v5, vcc
	v_addc_co_u32_e64 v10, s[0:1], 0, v7, s[0:1]
	v_cmp_le_u32_e32 vcc, s11, v5
	v_add_co_u32_e64 v11, s[0:1], 1, v6
	v_cndmask_b32_e64 v8, 0, -1, vcc
	v_cmp_le_u32_e32 vcc, s10, v0
	v_addc_co_u32_e64 v12, s[0:1], 0, v7, s[0:1]
	v_cndmask_b32_e64 v0, 0, -1, vcc
	v_cmp_eq_u32_e32 vcc, s11, v5
	v_cmp_ne_u32_e64 s[0:1], 0, v4
	v_cndmask_b32_e32 v0, v8, v0, vcc
	v_cndmask_b32_e64 v4, v12, v10, s[0:1]
	v_cmp_ne_u32_e32 vcc, 0, v0
	v_cndmask_b32_e32 v0, v7, v4, vcc
	v_cndmask_b32_e64 v4, v11, v9, s[0:1]
	v_cndmask_b32_e32 v4, v6, v4, vcc
	v_xor_b32_e32 v4, s8, v4
	v_xor_b32_e32 v0, s8, v0
	v_mov_b32_e32 v5, s8
	v_subrev_co_u32_e32 v4, vcc, s8, v4
	v_subb_co_u32_e32 v5, vcc, v0, v5, vcc
	s_cbranch_execnz .LBB72_5
.LBB72_4:
	v_cvt_f32_u32_e32 v0, s6
	s_sub_i32 s0, 0, s6
	v_rcp_iflag_f32_e32 v0, v0
	v_mul_f32_e32 v0, 0x4f7ffffe, v0
	v_cvt_u32_f32_e32 v0, v0
	v_mul_lo_u32 v4, s0, v0
	v_mul_hi_u32 v4, v0, v4
	v_add_u32_e32 v0, v0, v4
	v_mul_hi_u32 v0, v3, v0
	v_mul_lo_u32 v4, v0, s6
	v_add_u32_e32 v5, 1, v0
	v_sub_u32_e32 v4, v3, v4
	v_subrev_u32_e32 v6, s6, v4
	v_cmp_le_u32_e32 vcc, s6, v4
	v_cndmask_b32_e32 v4, v4, v6, vcc
	v_cndmask_b32_e32 v0, v0, v5, vcc
	v_add_u32_e32 v5, 1, v0
	v_cmp_le_u32_e32 vcc, s6, v4
	v_cndmask_b32_e32 v4, v0, v5, vcc
	v_mov_b32_e32 v5, 0
.LBB72_5:
	v_mul_lo_u32 v0, v5, s6
	v_mul_lo_u32 v8, v4, s5
	v_mad_u64_u32 v[6:7], s[0:1], v4, s6, 0
	s_mul_i32 s4, s15, s7
	s_mul_hi_u32 s5, s14, s7
	v_add3_u32 v0, v7, v8, v0
	v_sub_co_u32_e32 v6, vcc, v3, v6
	v_subb_co_u32_e32 v7, vcc, 0, v0, vcc
	v_mul_lo_u32 v0, v5, s12
	v_mul_lo_u32 v5, v4, s13
	v_mad_u64_u32 v[3:4], s[0:1], v4, s12, 0
	v_cmp_neq_f32_e32 vcc, 0, v1
	v_cmp_neq_f32_e64 s[0:1], 0, v2
	v_add3_u32 v4, v4, v5, v0
	v_lshlrev_b64 v[5:6], 3, v[6:7]
	s_or_b64 s[0:1], vcc, s[0:1]
	s_waitcnt lgkmcnt(0)
	v_mov_b32_e32 v0, s3
	v_add_co_u32_e32 v5, vcc, s2, v5
	v_lshlrev_b64 v[3:4], 3, v[3:4]
	v_addc_co_u32_e32 v0, vcc, v0, v6, vcc
	s_add_i32 s5, s5, s4
	s_mul_i32 s4, s14, s7
	v_add_co_u32_e32 v3, vcc, v5, v3
	v_addc_co_u32_e32 v0, vcc, v0, v4, vcc
	s_lshl_b64 s[2:3], s[4:5], 3
	v_mov_b32_e32 v4, s3
	v_add_co_u32_e32 v3, vcc, s2, v3
	v_addc_co_u32_e32 v4, vcc, v0, v4, vcc
	s_and_saveexec_b64 s[2:3], s[0:1]
	s_xor_b64 s[0:1], exec, s[2:3]
	s_cbranch_execz .LBB72_7
; %bb.6:
	global_load_dwordx2 v[5:6], v[3:4], off
	s_waitcnt vmcnt(0)
	v_mul_f32_e64 v7, v2, -v6
	v_mul_f32_e32 v8, v2, v5
	v_fmac_f32_e32 v7, v5, v1
	v_fmac_f32_e32 v8, v6, v1
	global_store_dwordx2 v[3:4], v[7:8], off
                                        ; implicit-def: $vgpr3_vgpr4
.LBB72_7:
	s_andn2_saveexec_b64 s[0:1], s[0:1]
	s_cbranch_execz .LBB72_9
; %bb.8:
	v_mov_b32_e32 v0, 0
	v_mov_b32_e32 v1, v0
	global_store_dwordx2 v[3:4], v[0:1], off
.LBB72_9:
	s_endpgm
.LBB72_10:
                                        ; implicit-def: $vgpr4_vgpr5
	s_branch .LBB72_4
	.section	.rodata,"a",@progbits
	.p2align	6, 0x0
	.amdhsa_kernel _ZN9rocsparseL15scale_2d_kernelILj256El21rocsparse_complex_numIfEEEvT0_S3_llNS_24const_host_device_scalarIT1_EEPS5_16rocsparse_order_b
		.amdhsa_group_segment_fixed_size 0
		.amdhsa_private_segment_fixed_size 0
		.amdhsa_kernarg_size 56
		.amdhsa_user_sgpr_count 6
		.amdhsa_user_sgpr_private_segment_buffer 1
		.amdhsa_user_sgpr_dispatch_ptr 0
		.amdhsa_user_sgpr_queue_ptr 0
		.amdhsa_user_sgpr_kernarg_segment_ptr 1
		.amdhsa_user_sgpr_dispatch_id 0
		.amdhsa_user_sgpr_flat_scratch_init 0
		.amdhsa_user_sgpr_private_segment_size 0
		.amdhsa_uses_dynamic_stack 0
		.amdhsa_system_sgpr_private_segment_wavefront_offset 0
		.amdhsa_system_sgpr_workgroup_id_x 1
		.amdhsa_system_sgpr_workgroup_id_y 1
		.amdhsa_system_sgpr_workgroup_id_z 0
		.amdhsa_system_sgpr_workgroup_info 0
		.amdhsa_system_vgpr_workitem_id 0
		.amdhsa_next_free_vgpr 13
		.amdhsa_next_free_sgpr 22
		.amdhsa_reserve_vcc 1
		.amdhsa_reserve_flat_scratch 0
		.amdhsa_float_round_mode_32 0
		.amdhsa_float_round_mode_16_64 0
		.amdhsa_float_denorm_mode_32 3
		.amdhsa_float_denorm_mode_16_64 3
		.amdhsa_dx10_clamp 1
		.amdhsa_ieee_mode 1
		.amdhsa_fp16_overflow 0
		.amdhsa_exception_fp_ieee_invalid_op 0
		.amdhsa_exception_fp_denorm_src 0
		.amdhsa_exception_fp_ieee_div_zero 0
		.amdhsa_exception_fp_ieee_overflow 0
		.amdhsa_exception_fp_ieee_underflow 0
		.amdhsa_exception_fp_ieee_inexact 0
		.amdhsa_exception_int_div_zero 0
	.end_amdhsa_kernel
	.section	.text._ZN9rocsparseL15scale_2d_kernelILj256El21rocsparse_complex_numIfEEEvT0_S3_llNS_24const_host_device_scalarIT1_EEPS5_16rocsparse_order_b,"axG",@progbits,_ZN9rocsparseL15scale_2d_kernelILj256El21rocsparse_complex_numIfEEEvT0_S3_llNS_24const_host_device_scalarIT1_EEPS5_16rocsparse_order_b,comdat
.Lfunc_end72:
	.size	_ZN9rocsparseL15scale_2d_kernelILj256El21rocsparse_complex_numIfEEEvT0_S3_llNS_24const_host_device_scalarIT1_EEPS5_16rocsparse_order_b, .Lfunc_end72-_ZN9rocsparseL15scale_2d_kernelILj256El21rocsparse_complex_numIfEEEvT0_S3_llNS_24const_host_device_scalarIT1_EEPS5_16rocsparse_order_b
                                        ; -- End function
	.set _ZN9rocsparseL15scale_2d_kernelILj256El21rocsparse_complex_numIfEEEvT0_S3_llNS_24const_host_device_scalarIT1_EEPS5_16rocsparse_order_b.num_vgpr, 13
	.set _ZN9rocsparseL15scale_2d_kernelILj256El21rocsparse_complex_numIfEEEvT0_S3_llNS_24const_host_device_scalarIT1_EEPS5_16rocsparse_order_b.num_agpr, 0
	.set _ZN9rocsparseL15scale_2d_kernelILj256El21rocsparse_complex_numIfEEEvT0_S3_llNS_24const_host_device_scalarIT1_EEPS5_16rocsparse_order_b.numbered_sgpr, 22
	.set _ZN9rocsparseL15scale_2d_kernelILj256El21rocsparse_complex_numIfEEEvT0_S3_llNS_24const_host_device_scalarIT1_EEPS5_16rocsparse_order_b.num_named_barrier, 0
	.set _ZN9rocsparseL15scale_2d_kernelILj256El21rocsparse_complex_numIfEEEvT0_S3_llNS_24const_host_device_scalarIT1_EEPS5_16rocsparse_order_b.private_seg_size, 0
	.set _ZN9rocsparseL15scale_2d_kernelILj256El21rocsparse_complex_numIfEEEvT0_S3_llNS_24const_host_device_scalarIT1_EEPS5_16rocsparse_order_b.uses_vcc, 1
	.set _ZN9rocsparseL15scale_2d_kernelILj256El21rocsparse_complex_numIfEEEvT0_S3_llNS_24const_host_device_scalarIT1_EEPS5_16rocsparse_order_b.uses_flat_scratch, 0
	.set _ZN9rocsparseL15scale_2d_kernelILj256El21rocsparse_complex_numIfEEEvT0_S3_llNS_24const_host_device_scalarIT1_EEPS5_16rocsparse_order_b.has_dyn_sized_stack, 0
	.set _ZN9rocsparseL15scale_2d_kernelILj256El21rocsparse_complex_numIfEEEvT0_S3_llNS_24const_host_device_scalarIT1_EEPS5_16rocsparse_order_b.has_recursion, 0
	.set _ZN9rocsparseL15scale_2d_kernelILj256El21rocsparse_complex_numIfEEEvT0_S3_llNS_24const_host_device_scalarIT1_EEPS5_16rocsparse_order_b.has_indirect_call, 0
	.section	.AMDGPU.csdata,"",@progbits
; Kernel info:
; codeLenInByte = 1128
; TotalNumSgprs: 26
; NumVgprs: 13
; ScratchSize: 0
; MemoryBound: 0
; FloatMode: 240
; IeeeMode: 1
; LDSByteSize: 0 bytes/workgroup (compile time only)
; SGPRBlocks: 3
; VGPRBlocks: 3
; NumSGPRsForWavesPerEU: 26
; NumVGPRsForWavesPerEU: 13
; Occupancy: 10
; WaveLimiterHint : 0
; COMPUTE_PGM_RSRC2:SCRATCH_EN: 0
; COMPUTE_PGM_RSRC2:USER_SGPR: 6
; COMPUTE_PGM_RSRC2:TRAP_HANDLER: 0
; COMPUTE_PGM_RSRC2:TGID_X_EN: 1
; COMPUTE_PGM_RSRC2:TGID_Y_EN: 1
; COMPUTE_PGM_RSRC2:TGID_Z_EN: 0
; COMPUTE_PGM_RSRC2:TIDIG_COMP_CNT: 0
	.section	.text._ZN9rocsparseL15scale_2d_kernelILj256El21rocsparse_complex_numIdEEEvT0_S3_llNS_24const_host_device_scalarIT1_EEPS5_16rocsparse_order_b,"axG",@progbits,_ZN9rocsparseL15scale_2d_kernelILj256El21rocsparse_complex_numIdEEEvT0_S3_llNS_24const_host_device_scalarIT1_EEPS5_16rocsparse_order_b,comdat
	.globl	_ZN9rocsparseL15scale_2d_kernelILj256El21rocsparse_complex_numIdEEEvT0_S3_llNS_24const_host_device_scalarIT1_EEPS5_16rocsparse_order_b ; -- Begin function _ZN9rocsparseL15scale_2d_kernelILj256El21rocsparse_complex_numIdEEEvT0_S3_llNS_24const_host_device_scalarIT1_EEPS5_16rocsparse_order_b
	.p2align	8
	.type	_ZN9rocsparseL15scale_2d_kernelILj256El21rocsparse_complex_numIdEEEvT0_S3_llNS_24const_host_device_scalarIT1_EEPS5_16rocsparse_order_b,@function
_ZN9rocsparseL15scale_2d_kernelILj256El21rocsparse_complex_numIdEEEvT0_S3_llNS_24const_host_device_scalarIT1_EEPS5_16rocsparse_order_b: ; @_ZN9rocsparseL15scale_2d_kernelILj256El21rocsparse_complex_numIdEEEvT0_S3_llNS_24const_host_device_scalarIT1_EEPS5_16rocsparse_order_b
; %bb.0:
	s_load_dwordx2 s[2:3], s[4:5], 0x38
	s_load_dwordx2 s[0:1], s[4:5], 0x20
	s_add_u32 s8, s4, 32
	s_addc_u32 s9, s5, 0
	s_waitcnt lgkmcnt(0)
	s_bitcmp1_b32 s3, 0
	s_cselect_b32 s1, s9, s1
	s_cselect_b32 s0, s8, s0
	v_mov_b32_e32 v1, s0
	v_mov_b32_e32 v2, s1
	flat_load_dwordx4 v[1:4], v[1:2]
	s_waitcnt vmcnt(0) lgkmcnt(0)
	v_cmp_neq_f64_e32 vcc, 1.0, v[1:2]
	v_cmp_neq_f64_e64 s[0:1], 0, v[3:4]
	s_or_b64 s[0:1], vcc, s[0:1]
	s_and_saveexec_b64 s[8:9], s[0:1]
	s_cbranch_execz .LBB73_8
; %bb.1:
	s_load_dwordx8 s[8:15], s[4:5], 0x0
	v_lshl_or_b32 v5, s6, 8, v0
	v_mov_b32_e32 v6, 0
	s_waitcnt lgkmcnt(0)
	s_mul_i32 s0, s10, s9
	s_mul_hi_u32 s1, s10, s8
	s_mul_i32 s3, s11, s8
	s_add_i32 s0, s1, s0
	s_add_i32 s1, s0, s3
	s_mul_i32 s0, s10, s8
	v_cmp_gt_i64_e32 vcc, s[0:1], v[5:6]
	s_and_b64 exec, exec, vcc
	s_cbranch_execz .LBB73_8
; %bb.2:
	s_load_dwordx2 s[4:5], s[4:5], 0x30
	s_cmp_eq_u32 s2, 1
	s_cselect_b32 s3, s9, s11
	s_mov_b32 s2, 0
	s_cselect_b32 s6, s8, s10
	s_cmp_lg_u64 s[2:3], 0
	s_cbranch_scc0 .LBB73_9
; %bb.3:
	s_ashr_i32 s8, s3, 31
	s_add_u32 s0, s6, s8
	s_mov_b32 s9, s8
	s_addc_u32 s1, s3, s8
	s_xor_b64 s[10:11], s[0:1], s[8:9]
	v_cvt_f32_u32_e32 v0, s10
	v_cvt_f32_u32_e32 v6, s11
	s_sub_u32 s2, 0, s10
	s_subb_u32 s9, 0, s11
	v_madmk_f32 v0, v6, 0x4f800000, v0
	v_rcp_f32_e32 v0, v0
	v_mul_f32_e32 v0, 0x5f7ffffc, v0
	v_mul_f32_e32 v6, 0x2f800000, v0
	v_trunc_f32_e32 v6, v6
	v_madmk_f32 v0, v6, 0xcf800000, v0
	v_cvt_u32_f32_e32 v6, v6
	v_cvt_u32_f32_e32 v0, v0
	v_readfirstlane_b32 s16, v6
	v_readfirstlane_b32 s0, v0
	s_mul_i32 s1, s2, s16
	s_mul_hi_u32 s18, s2, s0
	s_mul_i32 s17, s9, s0
	s_add_i32 s1, s18, s1
	s_add_i32 s1, s1, s17
	s_mul_i32 s19, s2, s0
	s_mul_i32 s18, s0, s1
	s_mul_hi_u32 s20, s0, s19
	s_mul_hi_u32 s17, s0, s1
	s_add_u32 s18, s20, s18
	s_addc_u32 s17, 0, s17
	s_mul_hi_u32 s21, s16, s19
	s_mul_i32 s19, s16, s19
	s_add_u32 s18, s18, s19
	s_mul_hi_u32 s20, s16, s1
	s_addc_u32 s17, s17, s21
	s_addc_u32 s18, s20, 0
	s_mul_i32 s1, s16, s1
	s_add_u32 s1, s17, s1
	s_addc_u32 s17, 0, s18
	s_add_u32 s18, s0, s1
	s_cselect_b64 s[0:1], -1, 0
	s_cmp_lg_u64 s[0:1], 0
	s_addc_u32 s16, s16, s17
	s_mul_i32 s0, s2, s16
	s_mul_hi_u32 s1, s2, s18
	s_add_i32 s0, s1, s0
	s_mul_i32 s9, s9, s18
	s_add_i32 s0, s0, s9
	s_mul_i32 s2, s2, s18
	s_mul_hi_u32 s9, s16, s2
	s_mul_i32 s17, s16, s2
	s_mul_i32 s20, s18, s0
	s_mul_hi_u32 s2, s18, s2
	s_mul_hi_u32 s19, s18, s0
	s_add_u32 s2, s2, s20
	s_addc_u32 s19, 0, s19
	s_add_u32 s2, s2, s17
	s_mul_hi_u32 s1, s16, s0
	s_addc_u32 s2, s19, s9
	s_addc_u32 s1, s1, 0
	s_mul_i32 s0, s16, s0
	s_add_u32 s0, s2, s0
	s_addc_u32 s2, 0, s1
	s_add_u32 s9, s18, s0
	s_cselect_b64 s[0:1], -1, 0
	s_cmp_lg_u64 s[0:1], 0
	s_addc_u32 s2, s16, s2
	v_add_co_u32_e32 v0, vcc, 0, v5
	v_mad_u64_u32 v[6:7], s[0:1], v0, s2, 0
	v_mul_hi_u32 v8, v0, s9
	v_addc_co_u32_e64 v10, s[0:1], 0, 0, vcc
	v_add_co_u32_e32 v11, vcc, v8, v6
	v_addc_co_u32_e32 v12, vcc, 0, v7, vcc
	v_mad_u64_u32 v[6:7], s[0:1], v10, s9, 0
	v_mad_u64_u32 v[8:9], s[0:1], v10, s2, 0
	v_add_co_u32_e32 v6, vcc, v11, v6
	v_addc_co_u32_e32 v6, vcc, v12, v7, vcc
	v_addc_co_u32_e32 v7, vcc, 0, v9, vcc
	v_add_co_u32_e32 v8, vcc, v6, v8
	v_addc_co_u32_e32 v9, vcc, 0, v7, vcc
	v_mul_lo_u32 v11, s11, v8
	v_mul_lo_u32 v12, s10, v9
	v_mad_u64_u32 v[6:7], s[0:1], s10, v8, 0
	v_add3_u32 v7, v7, v12, v11
	v_sub_u32_e32 v11, v10, v7
	v_mov_b32_e32 v12, s11
	v_sub_co_u32_e32 v0, vcc, v0, v6
	v_subb_co_u32_e64 v6, s[0:1], v11, v12, vcc
	v_subrev_co_u32_e64 v11, s[0:1], s10, v0
	v_subbrev_co_u32_e64 v6, s[0:1], 0, v6, s[0:1]
	v_cmp_le_u32_e64 s[0:1], s11, v6
	v_cndmask_b32_e64 v12, 0, -1, s[0:1]
	v_cmp_le_u32_e64 s[0:1], s10, v11
	v_cndmask_b32_e64 v11, 0, -1, s[0:1]
	v_cmp_eq_u32_e64 s[0:1], s11, v6
	v_cndmask_b32_e64 v6, v12, v11, s[0:1]
	v_add_co_u32_e64 v11, s[0:1], 2, v8
	v_subb_co_u32_e32 v7, vcc, v10, v7, vcc
	v_addc_co_u32_e64 v12, s[0:1], 0, v9, s[0:1]
	v_cmp_le_u32_e32 vcc, s11, v7
	v_add_co_u32_e64 v13, s[0:1], 1, v8
	v_cndmask_b32_e64 v10, 0, -1, vcc
	v_cmp_le_u32_e32 vcc, s10, v0
	v_addc_co_u32_e64 v14, s[0:1], 0, v9, s[0:1]
	v_cndmask_b32_e64 v0, 0, -1, vcc
	v_cmp_eq_u32_e32 vcc, s11, v7
	v_cmp_ne_u32_e64 s[0:1], 0, v6
	v_cndmask_b32_e32 v0, v10, v0, vcc
	v_cndmask_b32_e64 v6, v14, v12, s[0:1]
	v_cmp_ne_u32_e32 vcc, 0, v0
	v_cndmask_b32_e32 v0, v9, v6, vcc
	v_cndmask_b32_e64 v6, v13, v11, s[0:1]
	v_cndmask_b32_e32 v6, v8, v6, vcc
	v_xor_b32_e32 v6, s8, v6
	v_xor_b32_e32 v0, s8, v0
	v_mov_b32_e32 v7, s8
	v_subrev_co_u32_e32 v6, vcc, s8, v6
	v_subb_co_u32_e32 v7, vcc, v0, v7, vcc
	s_cbranch_execnz .LBB73_5
.LBB73_4:
	v_cvt_f32_u32_e32 v0, s6
	s_sub_i32 s0, 0, s6
	v_rcp_iflag_f32_e32 v0, v0
	v_mul_f32_e32 v0, 0x4f7ffffe, v0
	v_cvt_u32_f32_e32 v0, v0
	v_mul_lo_u32 v6, s0, v0
	v_mul_hi_u32 v6, v0, v6
	v_add_u32_e32 v0, v0, v6
	v_mul_hi_u32 v0, v5, v0
	v_mul_lo_u32 v6, v0, s6
	v_add_u32_e32 v7, 1, v0
	v_sub_u32_e32 v6, v5, v6
	v_subrev_u32_e32 v8, s6, v6
	v_cmp_le_u32_e32 vcc, s6, v6
	v_cndmask_b32_e32 v6, v6, v8, vcc
	v_cndmask_b32_e32 v0, v0, v7, vcc
	v_add_u32_e32 v7, 1, v0
	v_cmp_le_u32_e32 vcc, s6, v6
	v_cndmask_b32_e32 v6, v0, v7, vcc
	v_mov_b32_e32 v7, 0
.LBB73_5:
	v_mul_lo_u32 v0, v7, s6
	v_mul_lo_u32 v10, v6, s3
	v_mad_u64_u32 v[8:9], s[0:1], v6, s6, 0
	v_cmp_neq_f64_e32 vcc, 0, v[1:2]
	v_cmp_neq_f64_e64 s[0:1], 0, v[3:4]
	v_add3_u32 v0, v9, v10, v0
	v_mad_u64_u32 v[9:10], s[2:3], v6, s12, 0
	v_mul_lo_u32 v11, v7, s12
	v_mul_lo_u32 v12, v6, s13
	v_sub_co_u32_e64 v7, s[2:3], v5, v8
	v_subb_co_u32_e64 v8, s[2:3], 0, v0, s[2:3]
	v_lshlrev_b64 v[7:8], 4, v[7:8]
	s_or_b64 s[2:3], vcc, s[0:1]
	v_add3_u32 v10, v10, v12, v11
	s_waitcnt lgkmcnt(0)
	v_mov_b32_e32 v0, s5
	v_add_co_u32_e32 v11, vcc, s4, v7
	v_addc_co_u32_e32 v0, vcc, v0, v8, vcc
	v_lshlrev_b64 v[7:8], 4, v[9:10]
	s_mul_i32 s0, s15, s7
	s_mul_hi_u32 s1, s14, s7
	s_add_i32 s1, s1, s0
	s_mul_i32 s0, s14, s7
	v_add_co_u32_e32 v9, vcc, v11, v7
	v_addc_co_u32_e32 v0, vcc, v0, v8, vcc
	s_lshl_b64 s[0:1], s[0:1], 4
	v_mov_b32_e32 v5, 0
	v_mov_b32_e32 v10, s1
	v_mov_b32_e32 v7, 0
	v_add_co_u32_e32 v9, vcc, s0, v9
	v_mov_b32_e32 v6, 0
	v_mov_b32_e32 v8, 0
	v_addc_co_u32_e32 v10, vcc, v0, v10, vcc
	s_and_saveexec_b64 s[0:1], s[2:3]
	s_cbranch_execz .LBB73_7
; %bb.6:
	global_load_dwordx4 v[5:8], v[9:10], off
	s_waitcnt vmcnt(0)
	v_mul_f64 v[11:12], v[3:4], -v[7:8]
	v_mul_f64 v[3:4], v[3:4], v[5:6]
	v_fma_f64 v[5:6], v[5:6], v[1:2], v[11:12]
	v_fma_f64 v[7:8], v[7:8], v[1:2], v[3:4]
.LBB73_7:
	s_or_b64 exec, exec, s[0:1]
	global_store_dwordx4 v[9:10], v[5:8], off
.LBB73_8:
	s_endpgm
.LBB73_9:
                                        ; implicit-def: $vgpr6_vgpr7
	s_branch .LBB73_4
	.section	.rodata,"a",@progbits
	.p2align	6, 0x0
	.amdhsa_kernel _ZN9rocsparseL15scale_2d_kernelILj256El21rocsparse_complex_numIdEEEvT0_S3_llNS_24const_host_device_scalarIT1_EEPS5_16rocsparse_order_b
		.amdhsa_group_segment_fixed_size 0
		.amdhsa_private_segment_fixed_size 0
		.amdhsa_kernarg_size 64
		.amdhsa_user_sgpr_count 6
		.amdhsa_user_sgpr_private_segment_buffer 1
		.amdhsa_user_sgpr_dispatch_ptr 0
		.amdhsa_user_sgpr_queue_ptr 0
		.amdhsa_user_sgpr_kernarg_segment_ptr 1
		.amdhsa_user_sgpr_dispatch_id 0
		.amdhsa_user_sgpr_flat_scratch_init 0
		.amdhsa_user_sgpr_private_segment_size 0
		.amdhsa_uses_dynamic_stack 0
		.amdhsa_system_sgpr_private_segment_wavefront_offset 0
		.amdhsa_system_sgpr_workgroup_id_x 1
		.amdhsa_system_sgpr_workgroup_id_y 1
		.amdhsa_system_sgpr_workgroup_id_z 0
		.amdhsa_system_sgpr_workgroup_info 0
		.amdhsa_system_vgpr_workitem_id 0
		.amdhsa_next_free_vgpr 15
		.amdhsa_next_free_sgpr 22
		.amdhsa_reserve_vcc 1
		.amdhsa_reserve_flat_scratch 0
		.amdhsa_float_round_mode_32 0
		.amdhsa_float_round_mode_16_64 0
		.amdhsa_float_denorm_mode_32 3
		.amdhsa_float_denorm_mode_16_64 3
		.amdhsa_dx10_clamp 1
		.amdhsa_ieee_mode 1
		.amdhsa_fp16_overflow 0
		.amdhsa_exception_fp_ieee_invalid_op 0
		.amdhsa_exception_fp_denorm_src 0
		.amdhsa_exception_fp_ieee_div_zero 0
		.amdhsa_exception_fp_ieee_overflow 0
		.amdhsa_exception_fp_ieee_underflow 0
		.amdhsa_exception_fp_ieee_inexact 0
		.amdhsa_exception_int_div_zero 0
	.end_amdhsa_kernel
	.section	.text._ZN9rocsparseL15scale_2d_kernelILj256El21rocsparse_complex_numIdEEEvT0_S3_llNS_24const_host_device_scalarIT1_EEPS5_16rocsparse_order_b,"axG",@progbits,_ZN9rocsparseL15scale_2d_kernelILj256El21rocsparse_complex_numIdEEEvT0_S3_llNS_24const_host_device_scalarIT1_EEPS5_16rocsparse_order_b,comdat
.Lfunc_end73:
	.size	_ZN9rocsparseL15scale_2d_kernelILj256El21rocsparse_complex_numIdEEEvT0_S3_llNS_24const_host_device_scalarIT1_EEPS5_16rocsparse_order_b, .Lfunc_end73-_ZN9rocsparseL15scale_2d_kernelILj256El21rocsparse_complex_numIdEEEvT0_S3_llNS_24const_host_device_scalarIT1_EEPS5_16rocsparse_order_b
                                        ; -- End function
	.set _ZN9rocsparseL15scale_2d_kernelILj256El21rocsparse_complex_numIdEEEvT0_S3_llNS_24const_host_device_scalarIT1_EEPS5_16rocsparse_order_b.num_vgpr, 15
	.set _ZN9rocsparseL15scale_2d_kernelILj256El21rocsparse_complex_numIdEEEvT0_S3_llNS_24const_host_device_scalarIT1_EEPS5_16rocsparse_order_b.num_agpr, 0
	.set _ZN9rocsparseL15scale_2d_kernelILj256El21rocsparse_complex_numIdEEEvT0_S3_llNS_24const_host_device_scalarIT1_EEPS5_16rocsparse_order_b.numbered_sgpr, 22
	.set _ZN9rocsparseL15scale_2d_kernelILj256El21rocsparse_complex_numIdEEEvT0_S3_llNS_24const_host_device_scalarIT1_EEPS5_16rocsparse_order_b.num_named_barrier, 0
	.set _ZN9rocsparseL15scale_2d_kernelILj256El21rocsparse_complex_numIdEEEvT0_S3_llNS_24const_host_device_scalarIT1_EEPS5_16rocsparse_order_b.private_seg_size, 0
	.set _ZN9rocsparseL15scale_2d_kernelILj256El21rocsparse_complex_numIdEEEvT0_S3_llNS_24const_host_device_scalarIT1_EEPS5_16rocsparse_order_b.uses_vcc, 1
	.set _ZN9rocsparseL15scale_2d_kernelILj256El21rocsparse_complex_numIdEEEvT0_S3_llNS_24const_host_device_scalarIT1_EEPS5_16rocsparse_order_b.uses_flat_scratch, 0
	.set _ZN9rocsparseL15scale_2d_kernelILj256El21rocsparse_complex_numIdEEEvT0_S3_llNS_24const_host_device_scalarIT1_EEPS5_16rocsparse_order_b.has_dyn_sized_stack, 0
	.set _ZN9rocsparseL15scale_2d_kernelILj256El21rocsparse_complex_numIdEEEvT0_S3_llNS_24const_host_device_scalarIT1_EEPS5_16rocsparse_order_b.has_recursion, 0
	.set _ZN9rocsparseL15scale_2d_kernelILj256El21rocsparse_complex_numIdEEEvT0_S3_llNS_24const_host_device_scalarIT1_EEPS5_16rocsparse_order_b.has_indirect_call, 0
	.section	.AMDGPU.csdata,"",@progbits
; Kernel info:
; codeLenInByte = 1140
; TotalNumSgprs: 26
; NumVgprs: 15
; ScratchSize: 0
; MemoryBound: 0
; FloatMode: 240
; IeeeMode: 1
; LDSByteSize: 0 bytes/workgroup (compile time only)
; SGPRBlocks: 3
; VGPRBlocks: 3
; NumSGPRsForWavesPerEU: 26
; NumVGPRsForWavesPerEU: 15
; Occupancy: 10
; WaveLimiterHint : 0
; COMPUTE_PGM_RSRC2:SCRATCH_EN: 0
; COMPUTE_PGM_RSRC2:USER_SGPR: 6
; COMPUTE_PGM_RSRC2:TRAP_HANDLER: 0
; COMPUTE_PGM_RSRC2:TGID_X_EN: 1
; COMPUTE_PGM_RSRC2:TGID_Y_EN: 1
; COMPUTE_PGM_RSRC2:TGID_Z_EN: 0
; COMPUTE_PGM_RSRC2:TIDIG_COMP_CNT: 0
	.section	.text._ZN9rocsparseL11copy_kernelILj256EiiEEvlPKT0_PT1_21rocsparse_index_base_S6_,"axG",@progbits,_ZN9rocsparseL11copy_kernelILj256EiiEEvlPKT0_PT1_21rocsparse_index_base_S6_,comdat
	.globl	_ZN9rocsparseL11copy_kernelILj256EiiEEvlPKT0_PT1_21rocsparse_index_base_S6_ ; -- Begin function _ZN9rocsparseL11copy_kernelILj256EiiEEvlPKT0_PT1_21rocsparse_index_base_S6_
	.p2align	8
	.type	_ZN9rocsparseL11copy_kernelILj256EiiEEvlPKT0_PT1_21rocsparse_index_base_S6_,@function
_ZN9rocsparseL11copy_kernelILj256EiiEEvlPKT0_PT1_21rocsparse_index_base_S6_: ; @_ZN9rocsparseL11copy_kernelILj256EiiEEvlPKT0_PT1_21rocsparse_index_base_S6_
; %bb.0:
	s_load_dwordx4 s[0:3], s[4:5], 0x0
	v_lshl_or_b32 v0, s6, 8, v0
	v_mov_b32_e32 v1, 0
	s_waitcnt lgkmcnt(0)
	v_cmp_gt_i64_e32 vcc, s[0:1], v[0:1]
	s_and_saveexec_b64 s[0:1], vcc
	s_cbranch_execz .LBB74_2
; %bb.1:
	v_lshlrev_b64 v[0:1], 2, v[0:1]
	v_mov_b32_e32 v3, s3
	v_add_co_u32_e32 v2, vcc, s2, v0
	v_addc_co_u32_e32 v3, vcc, v3, v1, vcc
	global_load_dword v2, v[2:3], off
	s_load_dwordx4 s[0:3], s[4:5], 0x10
	s_waitcnt lgkmcnt(0)
	s_sub_i32 s2, s3, s2
	v_mov_b32_e32 v3, s1
	v_add_co_u32_e32 v0, vcc, s0, v0
	v_addc_co_u32_e32 v1, vcc, v3, v1, vcc
	s_waitcnt vmcnt(0)
	v_add_u32_e32 v2, s2, v2
	global_store_dword v[0:1], v2, off
.LBB74_2:
	s_endpgm
	.section	.rodata,"a",@progbits
	.p2align	6, 0x0
	.amdhsa_kernel _ZN9rocsparseL11copy_kernelILj256EiiEEvlPKT0_PT1_21rocsparse_index_base_S6_
		.amdhsa_group_segment_fixed_size 0
		.amdhsa_private_segment_fixed_size 0
		.amdhsa_kernarg_size 32
		.amdhsa_user_sgpr_count 6
		.amdhsa_user_sgpr_private_segment_buffer 1
		.amdhsa_user_sgpr_dispatch_ptr 0
		.amdhsa_user_sgpr_queue_ptr 0
		.amdhsa_user_sgpr_kernarg_segment_ptr 1
		.amdhsa_user_sgpr_dispatch_id 0
		.amdhsa_user_sgpr_flat_scratch_init 0
		.amdhsa_user_sgpr_private_segment_size 0
		.amdhsa_uses_dynamic_stack 0
		.amdhsa_system_sgpr_private_segment_wavefront_offset 0
		.amdhsa_system_sgpr_workgroup_id_x 1
		.amdhsa_system_sgpr_workgroup_id_y 0
		.amdhsa_system_sgpr_workgroup_id_z 0
		.amdhsa_system_sgpr_workgroup_info 0
		.amdhsa_system_vgpr_workitem_id 0
		.amdhsa_next_free_vgpr 4
		.amdhsa_next_free_sgpr 7
		.amdhsa_reserve_vcc 1
		.amdhsa_reserve_flat_scratch 0
		.amdhsa_float_round_mode_32 0
		.amdhsa_float_round_mode_16_64 0
		.amdhsa_float_denorm_mode_32 3
		.amdhsa_float_denorm_mode_16_64 3
		.amdhsa_dx10_clamp 1
		.amdhsa_ieee_mode 1
		.amdhsa_fp16_overflow 0
		.amdhsa_exception_fp_ieee_invalid_op 0
		.amdhsa_exception_fp_denorm_src 0
		.amdhsa_exception_fp_ieee_div_zero 0
		.amdhsa_exception_fp_ieee_overflow 0
		.amdhsa_exception_fp_ieee_underflow 0
		.amdhsa_exception_fp_ieee_inexact 0
		.amdhsa_exception_int_div_zero 0
	.end_amdhsa_kernel
	.section	.text._ZN9rocsparseL11copy_kernelILj256EiiEEvlPKT0_PT1_21rocsparse_index_base_S6_,"axG",@progbits,_ZN9rocsparseL11copy_kernelILj256EiiEEvlPKT0_PT1_21rocsparse_index_base_S6_,comdat
.Lfunc_end74:
	.size	_ZN9rocsparseL11copy_kernelILj256EiiEEvlPKT0_PT1_21rocsparse_index_base_S6_, .Lfunc_end74-_ZN9rocsparseL11copy_kernelILj256EiiEEvlPKT0_PT1_21rocsparse_index_base_S6_
                                        ; -- End function
	.set _ZN9rocsparseL11copy_kernelILj256EiiEEvlPKT0_PT1_21rocsparse_index_base_S6_.num_vgpr, 4
	.set _ZN9rocsparseL11copy_kernelILj256EiiEEvlPKT0_PT1_21rocsparse_index_base_S6_.num_agpr, 0
	.set _ZN9rocsparseL11copy_kernelILj256EiiEEvlPKT0_PT1_21rocsparse_index_base_S6_.numbered_sgpr, 7
	.set _ZN9rocsparseL11copy_kernelILj256EiiEEvlPKT0_PT1_21rocsparse_index_base_S6_.num_named_barrier, 0
	.set _ZN9rocsparseL11copy_kernelILj256EiiEEvlPKT0_PT1_21rocsparse_index_base_S6_.private_seg_size, 0
	.set _ZN9rocsparseL11copy_kernelILj256EiiEEvlPKT0_PT1_21rocsparse_index_base_S6_.uses_vcc, 1
	.set _ZN9rocsparseL11copy_kernelILj256EiiEEvlPKT0_PT1_21rocsparse_index_base_S6_.uses_flat_scratch, 0
	.set _ZN9rocsparseL11copy_kernelILj256EiiEEvlPKT0_PT1_21rocsparse_index_base_S6_.has_dyn_sized_stack, 0
	.set _ZN9rocsparseL11copy_kernelILj256EiiEEvlPKT0_PT1_21rocsparse_index_base_S6_.has_recursion, 0
	.set _ZN9rocsparseL11copy_kernelILj256EiiEEvlPKT0_PT1_21rocsparse_index_base_S6_.has_indirect_call, 0
	.section	.AMDGPU.csdata,"",@progbits
; Kernel info:
; codeLenInByte = 112
; TotalNumSgprs: 11
; NumVgprs: 4
; ScratchSize: 0
; MemoryBound: 0
; FloatMode: 240
; IeeeMode: 1
; LDSByteSize: 0 bytes/workgroup (compile time only)
; SGPRBlocks: 1
; VGPRBlocks: 0
; NumSGPRsForWavesPerEU: 11
; NumVGPRsForWavesPerEU: 4
; Occupancy: 10
; WaveLimiterHint : 0
; COMPUTE_PGM_RSRC2:SCRATCH_EN: 0
; COMPUTE_PGM_RSRC2:USER_SGPR: 6
; COMPUTE_PGM_RSRC2:TRAP_HANDLER: 0
; COMPUTE_PGM_RSRC2:TGID_X_EN: 1
; COMPUTE_PGM_RSRC2:TGID_Y_EN: 0
; COMPUTE_PGM_RSRC2:TGID_Z_EN: 0
; COMPUTE_PGM_RSRC2:TIDIG_COMP_CNT: 0
	.section	.text._ZN9rocsparseL11copy_kernelILj256EilEEvlPKT0_PT1_21rocsparse_index_base_S6_,"axG",@progbits,_ZN9rocsparseL11copy_kernelILj256EilEEvlPKT0_PT1_21rocsparse_index_base_S6_,comdat
	.globl	_ZN9rocsparseL11copy_kernelILj256EilEEvlPKT0_PT1_21rocsparse_index_base_S6_ ; -- Begin function _ZN9rocsparseL11copy_kernelILj256EilEEvlPKT0_PT1_21rocsparse_index_base_S6_
	.p2align	8
	.type	_ZN9rocsparseL11copy_kernelILj256EilEEvlPKT0_PT1_21rocsparse_index_base_S6_,@function
_ZN9rocsparseL11copy_kernelILj256EilEEvlPKT0_PT1_21rocsparse_index_base_S6_: ; @_ZN9rocsparseL11copy_kernelILj256EilEEvlPKT0_PT1_21rocsparse_index_base_S6_
; %bb.0:
	s_load_dwordx4 s[0:3], s[4:5], 0x0
	v_lshl_or_b32 v0, s6, 8, v0
	v_mov_b32_e32 v1, 0
	s_waitcnt lgkmcnt(0)
	v_cmp_gt_i64_e32 vcc, s[0:1], v[0:1]
	s_and_saveexec_b64 s[0:1], vcc
	s_cbranch_execz .LBB75_2
; %bb.1:
	v_lshlrev_b64 v[2:3], 2, v[0:1]
	v_mov_b32_e32 v4, s3
	v_add_co_u32_e32 v2, vcc, s2, v2
	v_addc_co_u32_e32 v3, vcc, v4, v3, vcc
	global_load_dword v2, v[2:3], off
	s_load_dwordx4 s[0:3], s[4:5], 0x10
	v_lshlrev_b64 v[0:1], 3, v[0:1]
	s_waitcnt lgkmcnt(0)
	v_add_co_u32_e32 v0, vcc, s0, v0
	s_sub_i32 s0, s3, s2
	v_mov_b32_e32 v3, s1
	v_addc_co_u32_e32 v1, vcc, v3, v1, vcc
	s_waitcnt vmcnt(0)
	v_add_u32_e32 v2, s0, v2
	v_ashrrev_i32_e32 v3, 31, v2
	global_store_dwordx2 v[0:1], v[2:3], off
.LBB75_2:
	s_endpgm
	.section	.rodata,"a",@progbits
	.p2align	6, 0x0
	.amdhsa_kernel _ZN9rocsparseL11copy_kernelILj256EilEEvlPKT0_PT1_21rocsparse_index_base_S6_
		.amdhsa_group_segment_fixed_size 0
		.amdhsa_private_segment_fixed_size 0
		.amdhsa_kernarg_size 32
		.amdhsa_user_sgpr_count 6
		.amdhsa_user_sgpr_private_segment_buffer 1
		.amdhsa_user_sgpr_dispatch_ptr 0
		.amdhsa_user_sgpr_queue_ptr 0
		.amdhsa_user_sgpr_kernarg_segment_ptr 1
		.amdhsa_user_sgpr_dispatch_id 0
		.amdhsa_user_sgpr_flat_scratch_init 0
		.amdhsa_user_sgpr_private_segment_size 0
		.amdhsa_uses_dynamic_stack 0
		.amdhsa_system_sgpr_private_segment_wavefront_offset 0
		.amdhsa_system_sgpr_workgroup_id_x 1
		.amdhsa_system_sgpr_workgroup_id_y 0
		.amdhsa_system_sgpr_workgroup_id_z 0
		.amdhsa_system_sgpr_workgroup_info 0
		.amdhsa_system_vgpr_workitem_id 0
		.amdhsa_next_free_vgpr 5
		.amdhsa_next_free_sgpr 7
		.amdhsa_reserve_vcc 1
		.amdhsa_reserve_flat_scratch 0
		.amdhsa_float_round_mode_32 0
		.amdhsa_float_round_mode_16_64 0
		.amdhsa_float_denorm_mode_32 3
		.amdhsa_float_denorm_mode_16_64 3
		.amdhsa_dx10_clamp 1
		.amdhsa_ieee_mode 1
		.amdhsa_fp16_overflow 0
		.amdhsa_exception_fp_ieee_invalid_op 0
		.amdhsa_exception_fp_denorm_src 0
		.amdhsa_exception_fp_ieee_div_zero 0
		.amdhsa_exception_fp_ieee_overflow 0
		.amdhsa_exception_fp_ieee_underflow 0
		.amdhsa_exception_fp_ieee_inexact 0
		.amdhsa_exception_int_div_zero 0
	.end_amdhsa_kernel
	.section	.text._ZN9rocsparseL11copy_kernelILj256EilEEvlPKT0_PT1_21rocsparse_index_base_S6_,"axG",@progbits,_ZN9rocsparseL11copy_kernelILj256EilEEvlPKT0_PT1_21rocsparse_index_base_S6_,comdat
.Lfunc_end75:
	.size	_ZN9rocsparseL11copy_kernelILj256EilEEvlPKT0_PT1_21rocsparse_index_base_S6_, .Lfunc_end75-_ZN9rocsparseL11copy_kernelILj256EilEEvlPKT0_PT1_21rocsparse_index_base_S6_
                                        ; -- End function
	.set _ZN9rocsparseL11copy_kernelILj256EilEEvlPKT0_PT1_21rocsparse_index_base_S6_.num_vgpr, 5
	.set _ZN9rocsparseL11copy_kernelILj256EilEEvlPKT0_PT1_21rocsparse_index_base_S6_.num_agpr, 0
	.set _ZN9rocsparseL11copy_kernelILj256EilEEvlPKT0_PT1_21rocsparse_index_base_S6_.numbered_sgpr, 7
	.set _ZN9rocsparseL11copy_kernelILj256EilEEvlPKT0_PT1_21rocsparse_index_base_S6_.num_named_barrier, 0
	.set _ZN9rocsparseL11copy_kernelILj256EilEEvlPKT0_PT1_21rocsparse_index_base_S6_.private_seg_size, 0
	.set _ZN9rocsparseL11copy_kernelILj256EilEEvlPKT0_PT1_21rocsparse_index_base_S6_.uses_vcc, 1
	.set _ZN9rocsparseL11copy_kernelILj256EilEEvlPKT0_PT1_21rocsparse_index_base_S6_.uses_flat_scratch, 0
	.set _ZN9rocsparseL11copy_kernelILj256EilEEvlPKT0_PT1_21rocsparse_index_base_S6_.has_dyn_sized_stack, 0
	.set _ZN9rocsparseL11copy_kernelILj256EilEEvlPKT0_PT1_21rocsparse_index_base_S6_.has_recursion, 0
	.set _ZN9rocsparseL11copy_kernelILj256EilEEvlPKT0_PT1_21rocsparse_index_base_S6_.has_indirect_call, 0
	.section	.AMDGPU.csdata,"",@progbits
; Kernel info:
; codeLenInByte = 124
; TotalNumSgprs: 11
; NumVgprs: 5
; ScratchSize: 0
; MemoryBound: 0
; FloatMode: 240
; IeeeMode: 1
; LDSByteSize: 0 bytes/workgroup (compile time only)
; SGPRBlocks: 1
; VGPRBlocks: 1
; NumSGPRsForWavesPerEU: 11
; NumVGPRsForWavesPerEU: 5
; Occupancy: 10
; WaveLimiterHint : 0
; COMPUTE_PGM_RSRC2:SCRATCH_EN: 0
; COMPUTE_PGM_RSRC2:USER_SGPR: 6
; COMPUTE_PGM_RSRC2:TRAP_HANDLER: 0
; COMPUTE_PGM_RSRC2:TGID_X_EN: 1
; COMPUTE_PGM_RSRC2:TGID_Y_EN: 0
; COMPUTE_PGM_RSRC2:TGID_Z_EN: 0
; COMPUTE_PGM_RSRC2:TIDIG_COMP_CNT: 0
	.section	.text._ZN9rocsparseL11copy_kernelILj256EliEEvlPKT0_PT1_21rocsparse_index_base_S6_,"axG",@progbits,_ZN9rocsparseL11copy_kernelILj256EliEEvlPKT0_PT1_21rocsparse_index_base_S6_,comdat
	.globl	_ZN9rocsparseL11copy_kernelILj256EliEEvlPKT0_PT1_21rocsparse_index_base_S6_ ; -- Begin function _ZN9rocsparseL11copy_kernelILj256EliEEvlPKT0_PT1_21rocsparse_index_base_S6_
	.p2align	8
	.type	_ZN9rocsparseL11copy_kernelILj256EliEEvlPKT0_PT1_21rocsparse_index_base_S6_,@function
_ZN9rocsparseL11copy_kernelILj256EliEEvlPKT0_PT1_21rocsparse_index_base_S6_: ; @_ZN9rocsparseL11copy_kernelILj256EliEEvlPKT0_PT1_21rocsparse_index_base_S6_
; %bb.0:
	s_load_dwordx4 s[0:3], s[4:5], 0x0
	v_lshl_or_b32 v0, s6, 8, v0
	v_mov_b32_e32 v1, 0
	s_waitcnt lgkmcnt(0)
	v_cmp_gt_i64_e32 vcc, s[0:1], v[0:1]
	s_and_saveexec_b64 s[0:1], vcc
	s_cbranch_execz .LBB76_2
; %bb.1:
	v_lshlrev_b64 v[2:3], 3, v[0:1]
	v_mov_b32_e32 v4, s3
	v_add_co_u32_e32 v2, vcc, s2, v2
	v_addc_co_u32_e32 v3, vcc, v4, v3, vcc
	global_load_dword v2, v[2:3], off
	s_load_dwordx4 s[0:3], s[4:5], 0x10
	v_lshlrev_b64 v[0:1], 2, v[0:1]
	s_waitcnt lgkmcnt(0)
	v_mov_b32_e32 v3, s1
	v_add_co_u32_e32 v0, vcc, s0, v0
	s_sub_i32 s0, s3, s2
	v_addc_co_u32_e32 v1, vcc, v3, v1, vcc
	s_waitcnt vmcnt(0)
	v_add_u32_e32 v2, s0, v2
	global_store_dword v[0:1], v2, off
.LBB76_2:
	s_endpgm
	.section	.rodata,"a",@progbits
	.p2align	6, 0x0
	.amdhsa_kernel _ZN9rocsparseL11copy_kernelILj256EliEEvlPKT0_PT1_21rocsparse_index_base_S6_
		.amdhsa_group_segment_fixed_size 0
		.amdhsa_private_segment_fixed_size 0
		.amdhsa_kernarg_size 32
		.amdhsa_user_sgpr_count 6
		.amdhsa_user_sgpr_private_segment_buffer 1
		.amdhsa_user_sgpr_dispatch_ptr 0
		.amdhsa_user_sgpr_queue_ptr 0
		.amdhsa_user_sgpr_kernarg_segment_ptr 1
		.amdhsa_user_sgpr_dispatch_id 0
		.amdhsa_user_sgpr_flat_scratch_init 0
		.amdhsa_user_sgpr_private_segment_size 0
		.amdhsa_uses_dynamic_stack 0
		.amdhsa_system_sgpr_private_segment_wavefront_offset 0
		.amdhsa_system_sgpr_workgroup_id_x 1
		.amdhsa_system_sgpr_workgroup_id_y 0
		.amdhsa_system_sgpr_workgroup_id_z 0
		.amdhsa_system_sgpr_workgroup_info 0
		.amdhsa_system_vgpr_workitem_id 0
		.amdhsa_next_free_vgpr 5
		.amdhsa_next_free_sgpr 7
		.amdhsa_reserve_vcc 1
		.amdhsa_reserve_flat_scratch 0
		.amdhsa_float_round_mode_32 0
		.amdhsa_float_round_mode_16_64 0
		.amdhsa_float_denorm_mode_32 3
		.amdhsa_float_denorm_mode_16_64 3
		.amdhsa_dx10_clamp 1
		.amdhsa_ieee_mode 1
		.amdhsa_fp16_overflow 0
		.amdhsa_exception_fp_ieee_invalid_op 0
		.amdhsa_exception_fp_denorm_src 0
		.amdhsa_exception_fp_ieee_div_zero 0
		.amdhsa_exception_fp_ieee_overflow 0
		.amdhsa_exception_fp_ieee_underflow 0
		.amdhsa_exception_fp_ieee_inexact 0
		.amdhsa_exception_int_div_zero 0
	.end_amdhsa_kernel
	.section	.text._ZN9rocsparseL11copy_kernelILj256EliEEvlPKT0_PT1_21rocsparse_index_base_S6_,"axG",@progbits,_ZN9rocsparseL11copy_kernelILj256EliEEvlPKT0_PT1_21rocsparse_index_base_S6_,comdat
.Lfunc_end76:
	.size	_ZN9rocsparseL11copy_kernelILj256EliEEvlPKT0_PT1_21rocsparse_index_base_S6_, .Lfunc_end76-_ZN9rocsparseL11copy_kernelILj256EliEEvlPKT0_PT1_21rocsparse_index_base_S6_
                                        ; -- End function
	.set _ZN9rocsparseL11copy_kernelILj256EliEEvlPKT0_PT1_21rocsparse_index_base_S6_.num_vgpr, 5
	.set _ZN9rocsparseL11copy_kernelILj256EliEEvlPKT0_PT1_21rocsparse_index_base_S6_.num_agpr, 0
	.set _ZN9rocsparseL11copy_kernelILj256EliEEvlPKT0_PT1_21rocsparse_index_base_S6_.numbered_sgpr, 7
	.set _ZN9rocsparseL11copy_kernelILj256EliEEvlPKT0_PT1_21rocsparse_index_base_S6_.num_named_barrier, 0
	.set _ZN9rocsparseL11copy_kernelILj256EliEEvlPKT0_PT1_21rocsparse_index_base_S6_.private_seg_size, 0
	.set _ZN9rocsparseL11copy_kernelILj256EliEEvlPKT0_PT1_21rocsparse_index_base_S6_.uses_vcc, 1
	.set _ZN9rocsparseL11copy_kernelILj256EliEEvlPKT0_PT1_21rocsparse_index_base_S6_.uses_flat_scratch, 0
	.set _ZN9rocsparseL11copy_kernelILj256EliEEvlPKT0_PT1_21rocsparse_index_base_S6_.has_dyn_sized_stack, 0
	.set _ZN9rocsparseL11copy_kernelILj256EliEEvlPKT0_PT1_21rocsparse_index_base_S6_.has_recursion, 0
	.set _ZN9rocsparseL11copy_kernelILj256EliEEvlPKT0_PT1_21rocsparse_index_base_S6_.has_indirect_call, 0
	.section	.AMDGPU.csdata,"",@progbits
; Kernel info:
; codeLenInByte = 120
; TotalNumSgprs: 11
; NumVgprs: 5
; ScratchSize: 0
; MemoryBound: 0
; FloatMode: 240
; IeeeMode: 1
; LDSByteSize: 0 bytes/workgroup (compile time only)
; SGPRBlocks: 1
; VGPRBlocks: 1
; NumSGPRsForWavesPerEU: 11
; NumVGPRsForWavesPerEU: 5
; Occupancy: 10
; WaveLimiterHint : 0
; COMPUTE_PGM_RSRC2:SCRATCH_EN: 0
; COMPUTE_PGM_RSRC2:USER_SGPR: 6
; COMPUTE_PGM_RSRC2:TRAP_HANDLER: 0
; COMPUTE_PGM_RSRC2:TGID_X_EN: 1
; COMPUTE_PGM_RSRC2:TGID_Y_EN: 0
; COMPUTE_PGM_RSRC2:TGID_Z_EN: 0
; COMPUTE_PGM_RSRC2:TIDIG_COMP_CNT: 0
	.section	.text._ZN9rocsparseL11copy_kernelILj256EllEEvlPKT0_PT1_21rocsparse_index_base_S6_,"axG",@progbits,_ZN9rocsparseL11copy_kernelILj256EllEEvlPKT0_PT1_21rocsparse_index_base_S6_,comdat
	.globl	_ZN9rocsparseL11copy_kernelILj256EllEEvlPKT0_PT1_21rocsparse_index_base_S6_ ; -- Begin function _ZN9rocsparseL11copy_kernelILj256EllEEvlPKT0_PT1_21rocsparse_index_base_S6_
	.p2align	8
	.type	_ZN9rocsparseL11copy_kernelILj256EllEEvlPKT0_PT1_21rocsparse_index_base_S6_,@function
_ZN9rocsparseL11copy_kernelILj256EllEEvlPKT0_PT1_21rocsparse_index_base_S6_: ; @_ZN9rocsparseL11copy_kernelILj256EllEEvlPKT0_PT1_21rocsparse_index_base_S6_
; %bb.0:
	s_load_dwordx4 s[0:3], s[4:5], 0x0
	v_lshl_or_b32 v0, s6, 8, v0
	v_mov_b32_e32 v1, 0
	s_waitcnt lgkmcnt(0)
	v_cmp_gt_i64_e32 vcc, s[0:1], v[0:1]
	s_and_saveexec_b64 s[0:1], vcc
	s_cbranch_execz .LBB77_2
; %bb.1:
	v_lshlrev_b64 v[0:1], 3, v[0:1]
	v_mov_b32_e32 v3, s3
	v_add_co_u32_e32 v2, vcc, s2, v0
	v_addc_co_u32_e32 v3, vcc, v3, v1, vcc
	global_load_dwordx2 v[2:3], v[2:3], off
	s_load_dwordx4 s[0:3], s[4:5], 0x10
	s_waitcnt lgkmcnt(0)
	s_sub_u32 s2, s3, s2
	v_mov_b32_e32 v4, s1
	v_add_co_u32_e32 v0, vcc, s0, v0
	s_subb_u32 s1, 0, 0
	v_addc_co_u32_e32 v1, vcc, v4, v1, vcc
	v_mov_b32_e32 v4, s1
	s_waitcnt vmcnt(0)
	v_add_co_u32_e32 v2, vcc, s2, v2
	v_addc_co_u32_e32 v3, vcc, v4, v3, vcc
	global_store_dwordx2 v[0:1], v[2:3], off
.LBB77_2:
	s_endpgm
	.section	.rodata,"a",@progbits
	.p2align	6, 0x0
	.amdhsa_kernel _ZN9rocsparseL11copy_kernelILj256EllEEvlPKT0_PT1_21rocsparse_index_base_S6_
		.amdhsa_group_segment_fixed_size 0
		.amdhsa_private_segment_fixed_size 0
		.amdhsa_kernarg_size 32
		.amdhsa_user_sgpr_count 6
		.amdhsa_user_sgpr_private_segment_buffer 1
		.amdhsa_user_sgpr_dispatch_ptr 0
		.amdhsa_user_sgpr_queue_ptr 0
		.amdhsa_user_sgpr_kernarg_segment_ptr 1
		.amdhsa_user_sgpr_dispatch_id 0
		.amdhsa_user_sgpr_flat_scratch_init 0
		.amdhsa_user_sgpr_private_segment_size 0
		.amdhsa_uses_dynamic_stack 0
		.amdhsa_system_sgpr_private_segment_wavefront_offset 0
		.amdhsa_system_sgpr_workgroup_id_x 1
		.amdhsa_system_sgpr_workgroup_id_y 0
		.amdhsa_system_sgpr_workgroup_id_z 0
		.amdhsa_system_sgpr_workgroup_info 0
		.amdhsa_system_vgpr_workitem_id 0
		.amdhsa_next_free_vgpr 5
		.amdhsa_next_free_sgpr 7
		.amdhsa_reserve_vcc 1
		.amdhsa_reserve_flat_scratch 0
		.amdhsa_float_round_mode_32 0
		.amdhsa_float_round_mode_16_64 0
		.amdhsa_float_denorm_mode_32 3
		.amdhsa_float_denorm_mode_16_64 3
		.amdhsa_dx10_clamp 1
		.amdhsa_ieee_mode 1
		.amdhsa_fp16_overflow 0
		.amdhsa_exception_fp_ieee_invalid_op 0
		.amdhsa_exception_fp_denorm_src 0
		.amdhsa_exception_fp_ieee_div_zero 0
		.amdhsa_exception_fp_ieee_overflow 0
		.amdhsa_exception_fp_ieee_underflow 0
		.amdhsa_exception_fp_ieee_inexact 0
		.amdhsa_exception_int_div_zero 0
	.end_amdhsa_kernel
	.section	.text._ZN9rocsparseL11copy_kernelILj256EllEEvlPKT0_PT1_21rocsparse_index_base_S6_,"axG",@progbits,_ZN9rocsparseL11copy_kernelILj256EllEEvlPKT0_PT1_21rocsparse_index_base_S6_,comdat
.Lfunc_end77:
	.size	_ZN9rocsparseL11copy_kernelILj256EllEEvlPKT0_PT1_21rocsparse_index_base_S6_, .Lfunc_end77-_ZN9rocsparseL11copy_kernelILj256EllEEvlPKT0_PT1_21rocsparse_index_base_S6_
                                        ; -- End function
	.set _ZN9rocsparseL11copy_kernelILj256EllEEvlPKT0_PT1_21rocsparse_index_base_S6_.num_vgpr, 5
	.set _ZN9rocsparseL11copy_kernelILj256EllEEvlPKT0_PT1_21rocsparse_index_base_S6_.num_agpr, 0
	.set _ZN9rocsparseL11copy_kernelILj256EllEEvlPKT0_PT1_21rocsparse_index_base_S6_.numbered_sgpr, 7
	.set _ZN9rocsparseL11copy_kernelILj256EllEEvlPKT0_PT1_21rocsparse_index_base_S6_.num_named_barrier, 0
	.set _ZN9rocsparseL11copy_kernelILj256EllEEvlPKT0_PT1_21rocsparse_index_base_S6_.private_seg_size, 0
	.set _ZN9rocsparseL11copy_kernelILj256EllEEvlPKT0_PT1_21rocsparse_index_base_S6_.uses_vcc, 1
	.set _ZN9rocsparseL11copy_kernelILj256EllEEvlPKT0_PT1_21rocsparse_index_base_S6_.uses_flat_scratch, 0
	.set _ZN9rocsparseL11copy_kernelILj256EllEEvlPKT0_PT1_21rocsparse_index_base_S6_.has_dyn_sized_stack, 0
	.set _ZN9rocsparseL11copy_kernelILj256EllEEvlPKT0_PT1_21rocsparse_index_base_S6_.has_recursion, 0
	.set _ZN9rocsparseL11copy_kernelILj256EllEEvlPKT0_PT1_21rocsparse_index_base_S6_.has_indirect_call, 0
	.section	.AMDGPU.csdata,"",@progbits
; Kernel info:
; codeLenInByte = 124
; TotalNumSgprs: 11
; NumVgprs: 5
; ScratchSize: 0
; MemoryBound: 0
; FloatMode: 240
; IeeeMode: 1
; LDSByteSize: 0 bytes/workgroup (compile time only)
; SGPRBlocks: 1
; VGPRBlocks: 1
; NumSGPRsForWavesPerEU: 11
; NumVGPRsForWavesPerEU: 5
; Occupancy: 10
; WaveLimiterHint : 0
; COMPUTE_PGM_RSRC2:SCRATCH_EN: 0
; COMPUTE_PGM_RSRC2:USER_SGPR: 6
; COMPUTE_PGM_RSRC2:TRAP_HANDLER: 0
; COMPUTE_PGM_RSRC2:TGID_X_EN: 1
; COMPUTE_PGM_RSRC2:TGID_Y_EN: 0
; COMPUTE_PGM_RSRC2:TGID_Z_EN: 0
; COMPUTE_PGM_RSRC2:TIDIG_COMP_CNT: 0
	.section	.text._ZN9rocsparseL21copy_and_scale_kernelILj256EfEEvlPKT0_PS1_NS_24const_host_device_scalarIS1_EEb,"axG",@progbits,_ZN9rocsparseL21copy_and_scale_kernelILj256EfEEvlPKT0_PS1_NS_24const_host_device_scalarIS1_EEb,comdat
	.globl	_ZN9rocsparseL21copy_and_scale_kernelILj256EfEEvlPKT0_PS1_NS_24const_host_device_scalarIS1_EEb ; -- Begin function _ZN9rocsparseL21copy_and_scale_kernelILj256EfEEvlPKT0_PS1_NS_24const_host_device_scalarIS1_EEb
	.p2align	8
	.type	_ZN9rocsparseL21copy_and_scale_kernelILj256EfEEvlPKT0_PS1_NS_24const_host_device_scalarIS1_EEb,@function
_ZN9rocsparseL21copy_and_scale_kernelILj256EfEEvlPKT0_PS1_NS_24const_host_device_scalarIS1_EEb: ; @_ZN9rocsparseL21copy_and_scale_kernelILj256EfEEvlPKT0_PS1_NS_24const_host_device_scalarIS1_EEb
; %bb.0:
	s_load_dword s0, s[4:5], 0x20
	s_load_dwordx8 s[8:15], s[4:5], 0x0
	s_waitcnt lgkmcnt(0)
	s_bitcmp1_b32 s0, 0
	s_cselect_b64 s[0:1], -1, 0
	s_and_b64 vcc, exec, s[0:1]
	s_cbranch_vccnz .LBB78_2
; %bb.1:
	s_load_dword s14, s[14:15], 0x0
.LBB78_2:
	v_lshl_or_b32 v0, s6, 8, v0
	v_mov_b32_e32 v1, 0
	v_cmp_gt_i64_e32 vcc, s[8:9], v[0:1]
	s_and_saveexec_b64 s[0:1], vcc
	s_cbranch_execz .LBB78_6
; %bb.3:
	s_waitcnt lgkmcnt(0)
	v_cmp_eq_f32_e64 s[0:1], s14, 0
	v_lshlrev_b64 v[2:3], 2, v[0:1]
	s_and_b64 vcc, exec, s[0:1]
	s_cbranch_vccnz .LBB78_5
; %bb.4:
	v_mov_b32_e32 v1, s11
	v_add_co_u32_e32 v0, vcc, s10, v2
	v_addc_co_u32_e32 v1, vcc, v1, v3, vcc
	global_load_dword v0, v[0:1], off
	s_waitcnt vmcnt(0)
	v_mul_f32_e32 v1, s14, v0
.LBB78_5:
	v_mov_b32_e32 v0, s13
	v_add_co_u32_e32 v2, vcc, s12, v2
	v_addc_co_u32_e32 v3, vcc, v0, v3, vcc
	global_store_dword v[2:3], v1, off
.LBB78_6:
	s_endpgm
	.section	.rodata,"a",@progbits
	.p2align	6, 0x0
	.amdhsa_kernel _ZN9rocsparseL21copy_and_scale_kernelILj256EfEEvlPKT0_PS1_NS_24const_host_device_scalarIS1_EEb
		.amdhsa_group_segment_fixed_size 0
		.amdhsa_private_segment_fixed_size 0
		.amdhsa_kernarg_size 36
		.amdhsa_user_sgpr_count 6
		.amdhsa_user_sgpr_private_segment_buffer 1
		.amdhsa_user_sgpr_dispatch_ptr 0
		.amdhsa_user_sgpr_queue_ptr 0
		.amdhsa_user_sgpr_kernarg_segment_ptr 1
		.amdhsa_user_sgpr_dispatch_id 0
		.amdhsa_user_sgpr_flat_scratch_init 0
		.amdhsa_user_sgpr_private_segment_size 0
		.amdhsa_uses_dynamic_stack 0
		.amdhsa_system_sgpr_private_segment_wavefront_offset 0
		.amdhsa_system_sgpr_workgroup_id_x 1
		.amdhsa_system_sgpr_workgroup_id_y 0
		.amdhsa_system_sgpr_workgroup_id_z 0
		.amdhsa_system_sgpr_workgroup_info 0
		.amdhsa_system_vgpr_workitem_id 0
		.amdhsa_next_free_vgpr 4
		.amdhsa_next_free_sgpr 16
		.amdhsa_reserve_vcc 1
		.amdhsa_reserve_flat_scratch 0
		.amdhsa_float_round_mode_32 0
		.amdhsa_float_round_mode_16_64 0
		.amdhsa_float_denorm_mode_32 3
		.amdhsa_float_denorm_mode_16_64 3
		.amdhsa_dx10_clamp 1
		.amdhsa_ieee_mode 1
		.amdhsa_fp16_overflow 0
		.amdhsa_exception_fp_ieee_invalid_op 0
		.amdhsa_exception_fp_denorm_src 0
		.amdhsa_exception_fp_ieee_div_zero 0
		.amdhsa_exception_fp_ieee_overflow 0
		.amdhsa_exception_fp_ieee_underflow 0
		.amdhsa_exception_fp_ieee_inexact 0
		.amdhsa_exception_int_div_zero 0
	.end_amdhsa_kernel
	.section	.text._ZN9rocsparseL21copy_and_scale_kernelILj256EfEEvlPKT0_PS1_NS_24const_host_device_scalarIS1_EEb,"axG",@progbits,_ZN9rocsparseL21copy_and_scale_kernelILj256EfEEvlPKT0_PS1_NS_24const_host_device_scalarIS1_EEb,comdat
.Lfunc_end78:
	.size	_ZN9rocsparseL21copy_and_scale_kernelILj256EfEEvlPKT0_PS1_NS_24const_host_device_scalarIS1_EEb, .Lfunc_end78-_ZN9rocsparseL21copy_and_scale_kernelILj256EfEEvlPKT0_PS1_NS_24const_host_device_scalarIS1_EEb
                                        ; -- End function
	.set _ZN9rocsparseL21copy_and_scale_kernelILj256EfEEvlPKT0_PS1_NS_24const_host_device_scalarIS1_EEb.num_vgpr, 4
	.set _ZN9rocsparseL21copy_and_scale_kernelILj256EfEEvlPKT0_PS1_NS_24const_host_device_scalarIS1_EEb.num_agpr, 0
	.set _ZN9rocsparseL21copy_and_scale_kernelILj256EfEEvlPKT0_PS1_NS_24const_host_device_scalarIS1_EEb.numbered_sgpr, 16
	.set _ZN9rocsparseL21copy_and_scale_kernelILj256EfEEvlPKT0_PS1_NS_24const_host_device_scalarIS1_EEb.num_named_barrier, 0
	.set _ZN9rocsparseL21copy_and_scale_kernelILj256EfEEvlPKT0_PS1_NS_24const_host_device_scalarIS1_EEb.private_seg_size, 0
	.set _ZN9rocsparseL21copy_and_scale_kernelILj256EfEEvlPKT0_PS1_NS_24const_host_device_scalarIS1_EEb.uses_vcc, 1
	.set _ZN9rocsparseL21copy_and_scale_kernelILj256EfEEvlPKT0_PS1_NS_24const_host_device_scalarIS1_EEb.uses_flat_scratch, 0
	.set _ZN9rocsparseL21copy_and_scale_kernelILj256EfEEvlPKT0_PS1_NS_24const_host_device_scalarIS1_EEb.has_dyn_sized_stack, 0
	.set _ZN9rocsparseL21copy_and_scale_kernelILj256EfEEvlPKT0_PS1_NS_24const_host_device_scalarIS1_EEb.has_recursion, 0
	.set _ZN9rocsparseL21copy_and_scale_kernelILj256EfEEvlPKT0_PS1_NS_24const_host_device_scalarIS1_EEb.has_indirect_call, 0
	.section	.AMDGPU.csdata,"",@progbits
; Kernel info:
; codeLenInByte = 148
; TotalNumSgprs: 20
; NumVgprs: 4
; ScratchSize: 0
; MemoryBound: 0
; FloatMode: 240
; IeeeMode: 1
; LDSByteSize: 0 bytes/workgroup (compile time only)
; SGPRBlocks: 2
; VGPRBlocks: 0
; NumSGPRsForWavesPerEU: 20
; NumVGPRsForWavesPerEU: 4
; Occupancy: 10
; WaveLimiterHint : 0
; COMPUTE_PGM_RSRC2:SCRATCH_EN: 0
; COMPUTE_PGM_RSRC2:USER_SGPR: 6
; COMPUTE_PGM_RSRC2:TRAP_HANDLER: 0
; COMPUTE_PGM_RSRC2:TGID_X_EN: 1
; COMPUTE_PGM_RSRC2:TGID_Y_EN: 0
; COMPUTE_PGM_RSRC2:TGID_Z_EN: 0
; COMPUTE_PGM_RSRC2:TIDIG_COMP_CNT: 0
	.section	.text._ZN9rocsparseL21copy_and_scale_kernelILj256EdEEvlPKT0_PS1_NS_24const_host_device_scalarIS1_EEb,"axG",@progbits,_ZN9rocsparseL21copy_and_scale_kernelILj256EdEEvlPKT0_PS1_NS_24const_host_device_scalarIS1_EEb,comdat
	.globl	_ZN9rocsparseL21copy_and_scale_kernelILj256EdEEvlPKT0_PS1_NS_24const_host_device_scalarIS1_EEb ; -- Begin function _ZN9rocsparseL21copy_and_scale_kernelILj256EdEEvlPKT0_PS1_NS_24const_host_device_scalarIS1_EEb
	.p2align	8
	.type	_ZN9rocsparseL21copy_and_scale_kernelILj256EdEEvlPKT0_PS1_NS_24const_host_device_scalarIS1_EEb,@function
_ZN9rocsparseL21copy_and_scale_kernelILj256EdEEvlPKT0_PS1_NS_24const_host_device_scalarIS1_EEb: ; @_ZN9rocsparseL21copy_and_scale_kernelILj256EdEEvlPKT0_PS1_NS_24const_host_device_scalarIS1_EEb
; %bb.0:
	s_load_dword s0, s[4:5], 0x20
	s_load_dwordx8 s[8:15], s[4:5], 0x0
	s_waitcnt lgkmcnt(0)
	s_bitcmp1_b32 s0, 0
	s_cselect_b64 s[0:1], -1, 0
	v_mov_b32_e32 v1, s14
	s_and_b64 vcc, exec, s[0:1]
	v_mov_b32_e32 v2, s15
	s_cbranch_vccnz .LBB79_2
; %bb.1:
	v_mov_b32_e32 v1, s14
	v_mov_b32_e32 v2, s15
	flat_load_dwordx2 v[1:2], v[1:2]
.LBB79_2:
	v_lshl_or_b32 v3, s6, 8, v0
	v_mov_b32_e32 v4, 0
	v_cmp_gt_i64_e32 vcc, s[8:9], v[3:4]
	s_and_saveexec_b64 s[0:1], vcc
	s_cbranch_execz .LBB79_6
; %bb.3:
	s_waitcnt vmcnt(0) lgkmcnt(0)
	v_cmp_neq_f64_e32 vcc, 0, v[1:2]
	v_mov_b32_e32 v5, 0
	v_lshlrev_b64 v[3:4], 3, v[3:4]
	v_mov_b32_e32 v6, 0
	s_and_saveexec_b64 s[0:1], vcc
	s_cbranch_execz .LBB79_5
; %bb.4:
	v_mov_b32_e32 v0, s11
	v_add_co_u32_e32 v5, vcc, s10, v3
	v_addc_co_u32_e32 v6, vcc, v0, v4, vcc
	global_load_dwordx2 v[5:6], v[5:6], off
	s_waitcnt vmcnt(0)
	v_mul_f64 v[5:6], v[1:2], v[5:6]
.LBB79_5:
	s_or_b64 exec, exec, s[0:1]
	v_mov_b32_e32 v1, s13
	v_add_co_u32_e32 v0, vcc, s12, v3
	v_addc_co_u32_e32 v1, vcc, v1, v4, vcc
	global_store_dwordx2 v[0:1], v[5:6], off
.LBB79_6:
	s_endpgm
	.section	.rodata,"a",@progbits
	.p2align	6, 0x0
	.amdhsa_kernel _ZN9rocsparseL21copy_and_scale_kernelILj256EdEEvlPKT0_PS1_NS_24const_host_device_scalarIS1_EEb
		.amdhsa_group_segment_fixed_size 0
		.amdhsa_private_segment_fixed_size 0
		.amdhsa_kernarg_size 36
		.amdhsa_user_sgpr_count 6
		.amdhsa_user_sgpr_private_segment_buffer 1
		.amdhsa_user_sgpr_dispatch_ptr 0
		.amdhsa_user_sgpr_queue_ptr 0
		.amdhsa_user_sgpr_kernarg_segment_ptr 1
		.amdhsa_user_sgpr_dispatch_id 0
		.amdhsa_user_sgpr_flat_scratch_init 0
		.amdhsa_user_sgpr_private_segment_size 0
		.amdhsa_uses_dynamic_stack 0
		.amdhsa_system_sgpr_private_segment_wavefront_offset 0
		.amdhsa_system_sgpr_workgroup_id_x 1
		.amdhsa_system_sgpr_workgroup_id_y 0
		.amdhsa_system_sgpr_workgroup_id_z 0
		.amdhsa_system_sgpr_workgroup_info 0
		.amdhsa_system_vgpr_workitem_id 0
		.amdhsa_next_free_vgpr 7
		.amdhsa_next_free_sgpr 16
		.amdhsa_reserve_vcc 1
		.amdhsa_reserve_flat_scratch 0
		.amdhsa_float_round_mode_32 0
		.amdhsa_float_round_mode_16_64 0
		.amdhsa_float_denorm_mode_32 3
		.amdhsa_float_denorm_mode_16_64 3
		.amdhsa_dx10_clamp 1
		.amdhsa_ieee_mode 1
		.amdhsa_fp16_overflow 0
		.amdhsa_exception_fp_ieee_invalid_op 0
		.amdhsa_exception_fp_denorm_src 0
		.amdhsa_exception_fp_ieee_div_zero 0
		.amdhsa_exception_fp_ieee_overflow 0
		.amdhsa_exception_fp_ieee_underflow 0
		.amdhsa_exception_fp_ieee_inexact 0
		.amdhsa_exception_int_div_zero 0
	.end_amdhsa_kernel
	.section	.text._ZN9rocsparseL21copy_and_scale_kernelILj256EdEEvlPKT0_PS1_NS_24const_host_device_scalarIS1_EEb,"axG",@progbits,_ZN9rocsparseL21copy_and_scale_kernelILj256EdEEvlPKT0_PS1_NS_24const_host_device_scalarIS1_EEb,comdat
.Lfunc_end79:
	.size	_ZN9rocsparseL21copy_and_scale_kernelILj256EdEEvlPKT0_PS1_NS_24const_host_device_scalarIS1_EEb, .Lfunc_end79-_ZN9rocsparseL21copy_and_scale_kernelILj256EdEEvlPKT0_PS1_NS_24const_host_device_scalarIS1_EEb
                                        ; -- End function
	.set _ZN9rocsparseL21copy_and_scale_kernelILj256EdEEvlPKT0_PS1_NS_24const_host_device_scalarIS1_EEb.num_vgpr, 7
	.set _ZN9rocsparseL21copy_and_scale_kernelILj256EdEEvlPKT0_PS1_NS_24const_host_device_scalarIS1_EEb.num_agpr, 0
	.set _ZN9rocsparseL21copy_and_scale_kernelILj256EdEEvlPKT0_PS1_NS_24const_host_device_scalarIS1_EEb.numbered_sgpr, 16
	.set _ZN9rocsparseL21copy_and_scale_kernelILj256EdEEvlPKT0_PS1_NS_24const_host_device_scalarIS1_EEb.num_named_barrier, 0
	.set _ZN9rocsparseL21copy_and_scale_kernelILj256EdEEvlPKT0_PS1_NS_24const_host_device_scalarIS1_EEb.private_seg_size, 0
	.set _ZN9rocsparseL21copy_and_scale_kernelILj256EdEEvlPKT0_PS1_NS_24const_host_device_scalarIS1_EEb.uses_vcc, 1
	.set _ZN9rocsparseL21copy_and_scale_kernelILj256EdEEvlPKT0_PS1_NS_24const_host_device_scalarIS1_EEb.uses_flat_scratch, 0
	.set _ZN9rocsparseL21copy_and_scale_kernelILj256EdEEvlPKT0_PS1_NS_24const_host_device_scalarIS1_EEb.has_dyn_sized_stack, 0
	.set _ZN9rocsparseL21copy_and_scale_kernelILj256EdEEvlPKT0_PS1_NS_24const_host_device_scalarIS1_EEb.has_recursion, 0
	.set _ZN9rocsparseL21copy_and_scale_kernelILj256EdEEvlPKT0_PS1_NS_24const_host_device_scalarIS1_EEb.has_indirect_call, 0
	.section	.AMDGPU.csdata,"",@progbits
; Kernel info:
; codeLenInByte = 176
; TotalNumSgprs: 20
; NumVgprs: 7
; ScratchSize: 0
; MemoryBound: 0
; FloatMode: 240
; IeeeMode: 1
; LDSByteSize: 0 bytes/workgroup (compile time only)
; SGPRBlocks: 2
; VGPRBlocks: 1
; NumSGPRsForWavesPerEU: 20
; NumVGPRsForWavesPerEU: 7
; Occupancy: 10
; WaveLimiterHint : 0
; COMPUTE_PGM_RSRC2:SCRATCH_EN: 0
; COMPUTE_PGM_RSRC2:USER_SGPR: 6
; COMPUTE_PGM_RSRC2:TRAP_HANDLER: 0
; COMPUTE_PGM_RSRC2:TGID_X_EN: 1
; COMPUTE_PGM_RSRC2:TGID_Y_EN: 0
; COMPUTE_PGM_RSRC2:TGID_Z_EN: 0
; COMPUTE_PGM_RSRC2:TIDIG_COMP_CNT: 0
	.section	.text._ZN9rocsparseL21copy_and_scale_kernelILj256E21rocsparse_complex_numIfEEEvlPKT0_PS3_NS_24const_host_device_scalarIS3_EEb,"axG",@progbits,_ZN9rocsparseL21copy_and_scale_kernelILj256E21rocsparse_complex_numIfEEEvlPKT0_PS3_NS_24const_host_device_scalarIS3_EEb,comdat
	.globl	_ZN9rocsparseL21copy_and_scale_kernelILj256E21rocsparse_complex_numIfEEEvlPKT0_PS3_NS_24const_host_device_scalarIS3_EEb ; -- Begin function _ZN9rocsparseL21copy_and_scale_kernelILj256E21rocsparse_complex_numIfEEEvlPKT0_PS3_NS_24const_host_device_scalarIS3_EEb
	.p2align	8
	.type	_ZN9rocsparseL21copy_and_scale_kernelILj256E21rocsparse_complex_numIfEEEvlPKT0_PS3_NS_24const_host_device_scalarIS3_EEb,@function
_ZN9rocsparseL21copy_and_scale_kernelILj256E21rocsparse_complex_numIfEEEvlPKT0_PS3_NS_24const_host_device_scalarIS3_EEb: ; @_ZN9rocsparseL21copy_and_scale_kernelILj256E21rocsparse_complex_numIfEEEvlPKT0_PS3_NS_24const_host_device_scalarIS3_EEb
; %bb.0:
	s_load_dword s0, s[4:5], 0x20
	s_load_dwordx8 s[8:15], s[4:5], 0x0
	s_waitcnt lgkmcnt(0)
	s_bitcmp1_b32 s0, 0
	s_cselect_b64 s[2:3], -1, 0
	s_xor_b64 s[0:1], s[2:3], -1
	s_and_b64 vcc, exec, s[2:3]
	s_mov_b32 s2, s14
	s_cbranch_vccnz .LBB80_2
; %bb.1:
	s_load_dword s2, s[14:15], 0x0
.LBB80_2:
	s_andn2_b64 vcc, exec, s[0:1]
	s_cbranch_vccnz .LBB80_4
; %bb.3:
	s_load_dword s15, s[14:15], 0x4
.LBB80_4:
	v_lshl_or_b32 v0, s6, 8, v0
	v_mov_b32_e32 v1, 0
	v_cmp_gt_i64_e32 vcc, s[8:9], v[0:1]
	s_and_saveexec_b64 s[0:1], vcc
	s_cbranch_execz .LBB80_9
; %bb.5:
	s_waitcnt lgkmcnt(0)
	v_cmp_eq_f32_e64 s[0:1], s2, 0
	v_cmp_eq_f32_e64 s[4:5], s15, 0
	s_and_b64 s[0:1], s[0:1], s[4:5]
	v_lshlrev_b64 v[0:1], 3, v[0:1]
	s_andn2_b64 vcc, exec, s[0:1]
	s_mov_b64 s[0:1], -1
	s_cbranch_vccz .LBB80_7
; %bb.6:
	v_mov_b32_e32 v3, s11
	v_add_co_u32_e32 v2, vcc, s10, v0
	v_addc_co_u32_e32 v3, vcc, v3, v1, vcc
	global_load_dwordx2 v[2:3], v[2:3], off
	v_mov_b32_e32 v5, s13
	v_add_co_u32_e32 v4, vcc, s12, v0
	v_addc_co_u32_e32 v5, vcc, v5, v1, vcc
	s_mov_b64 s[0:1], 0
	s_waitcnt vmcnt(0)
	v_mul_f32_e64 v6, s15, -v3
	v_mul_f32_e32 v7, s15, v2
	v_fmac_f32_e32 v6, s2, v2
	v_fmac_f32_e32 v7, s2, v3
	global_store_dwordx2 v[4:5], v[6:7], off
.LBB80_7:
	s_andn2_b64 vcc, exec, s[0:1]
	s_cbranch_vccnz .LBB80_9
; %bb.8:
	v_mov_b32_e32 v2, s13
	v_add_co_u32_e32 v0, vcc, s12, v0
	v_addc_co_u32_e32 v1, vcc, v2, v1, vcc
	v_mov_b32_e32 v2, 0
	v_mov_b32_e32 v3, v2
	global_store_dwordx2 v[0:1], v[2:3], off
.LBB80_9:
	s_endpgm
	.section	.rodata,"a",@progbits
	.p2align	6, 0x0
	.amdhsa_kernel _ZN9rocsparseL21copy_and_scale_kernelILj256E21rocsparse_complex_numIfEEEvlPKT0_PS3_NS_24const_host_device_scalarIS3_EEb
		.amdhsa_group_segment_fixed_size 0
		.amdhsa_private_segment_fixed_size 0
		.amdhsa_kernarg_size 36
		.amdhsa_user_sgpr_count 6
		.amdhsa_user_sgpr_private_segment_buffer 1
		.amdhsa_user_sgpr_dispatch_ptr 0
		.amdhsa_user_sgpr_queue_ptr 0
		.amdhsa_user_sgpr_kernarg_segment_ptr 1
		.amdhsa_user_sgpr_dispatch_id 0
		.amdhsa_user_sgpr_flat_scratch_init 0
		.amdhsa_user_sgpr_private_segment_size 0
		.amdhsa_uses_dynamic_stack 0
		.amdhsa_system_sgpr_private_segment_wavefront_offset 0
		.amdhsa_system_sgpr_workgroup_id_x 1
		.amdhsa_system_sgpr_workgroup_id_y 0
		.amdhsa_system_sgpr_workgroup_id_z 0
		.amdhsa_system_sgpr_workgroup_info 0
		.amdhsa_system_vgpr_workitem_id 0
		.amdhsa_next_free_vgpr 8
		.amdhsa_next_free_sgpr 16
		.amdhsa_reserve_vcc 1
		.amdhsa_reserve_flat_scratch 0
		.amdhsa_float_round_mode_32 0
		.amdhsa_float_round_mode_16_64 0
		.amdhsa_float_denorm_mode_32 3
		.amdhsa_float_denorm_mode_16_64 3
		.amdhsa_dx10_clamp 1
		.amdhsa_ieee_mode 1
		.amdhsa_fp16_overflow 0
		.amdhsa_exception_fp_ieee_invalid_op 0
		.amdhsa_exception_fp_denorm_src 0
		.amdhsa_exception_fp_ieee_div_zero 0
		.amdhsa_exception_fp_ieee_overflow 0
		.amdhsa_exception_fp_ieee_underflow 0
		.amdhsa_exception_fp_ieee_inexact 0
		.amdhsa_exception_int_div_zero 0
	.end_amdhsa_kernel
	.section	.text._ZN9rocsparseL21copy_and_scale_kernelILj256E21rocsparse_complex_numIfEEEvlPKT0_PS3_NS_24const_host_device_scalarIS3_EEb,"axG",@progbits,_ZN9rocsparseL21copy_and_scale_kernelILj256E21rocsparse_complex_numIfEEEvlPKT0_PS3_NS_24const_host_device_scalarIS3_EEb,comdat
.Lfunc_end80:
	.size	_ZN9rocsparseL21copy_and_scale_kernelILj256E21rocsparse_complex_numIfEEEvlPKT0_PS3_NS_24const_host_device_scalarIS3_EEb, .Lfunc_end80-_ZN9rocsparseL21copy_and_scale_kernelILj256E21rocsparse_complex_numIfEEEvlPKT0_PS3_NS_24const_host_device_scalarIS3_EEb
                                        ; -- End function
	.set _ZN9rocsparseL21copy_and_scale_kernelILj256E21rocsparse_complex_numIfEEEvlPKT0_PS3_NS_24const_host_device_scalarIS3_EEb.num_vgpr, 8
	.set _ZN9rocsparseL21copy_and_scale_kernelILj256E21rocsparse_complex_numIfEEEvlPKT0_PS3_NS_24const_host_device_scalarIS3_EEb.num_agpr, 0
	.set _ZN9rocsparseL21copy_and_scale_kernelILj256E21rocsparse_complex_numIfEEEvlPKT0_PS3_NS_24const_host_device_scalarIS3_EEb.numbered_sgpr, 16
	.set _ZN9rocsparseL21copy_and_scale_kernelILj256E21rocsparse_complex_numIfEEEvlPKT0_PS3_NS_24const_host_device_scalarIS3_EEb.num_named_barrier, 0
	.set _ZN9rocsparseL21copy_and_scale_kernelILj256E21rocsparse_complex_numIfEEEvlPKT0_PS3_NS_24const_host_device_scalarIS3_EEb.private_seg_size, 0
	.set _ZN9rocsparseL21copy_and_scale_kernelILj256E21rocsparse_complex_numIfEEEvlPKT0_PS3_NS_24const_host_device_scalarIS3_EEb.uses_vcc, 1
	.set _ZN9rocsparseL21copy_and_scale_kernelILj256E21rocsparse_complex_numIfEEEvlPKT0_PS3_NS_24const_host_device_scalarIS3_EEb.uses_flat_scratch, 0
	.set _ZN9rocsparseL21copy_and_scale_kernelILj256E21rocsparse_complex_numIfEEEvlPKT0_PS3_NS_24const_host_device_scalarIS3_EEb.has_dyn_sized_stack, 0
	.set _ZN9rocsparseL21copy_and_scale_kernelILj256E21rocsparse_complex_numIfEEEvlPKT0_PS3_NS_24const_host_device_scalarIS3_EEb.has_recursion, 0
	.set _ZN9rocsparseL21copy_and_scale_kernelILj256E21rocsparse_complex_numIfEEEvlPKT0_PS3_NS_24const_host_device_scalarIS3_EEb.has_indirect_call, 0
	.section	.AMDGPU.csdata,"",@progbits
; Kernel info:
; codeLenInByte = 244
; TotalNumSgprs: 20
; NumVgprs: 8
; ScratchSize: 0
; MemoryBound: 0
; FloatMode: 240
; IeeeMode: 1
; LDSByteSize: 0 bytes/workgroup (compile time only)
; SGPRBlocks: 2
; VGPRBlocks: 1
; NumSGPRsForWavesPerEU: 20
; NumVGPRsForWavesPerEU: 8
; Occupancy: 10
; WaveLimiterHint : 0
; COMPUTE_PGM_RSRC2:SCRATCH_EN: 0
; COMPUTE_PGM_RSRC2:USER_SGPR: 6
; COMPUTE_PGM_RSRC2:TRAP_HANDLER: 0
; COMPUTE_PGM_RSRC2:TGID_X_EN: 1
; COMPUTE_PGM_RSRC2:TGID_Y_EN: 0
; COMPUTE_PGM_RSRC2:TGID_Z_EN: 0
; COMPUTE_PGM_RSRC2:TIDIG_COMP_CNT: 0
	.section	.text._ZN9rocsparseL21copy_and_scale_kernelILj256E21rocsparse_complex_numIdEEEvlPKT0_PS3_NS_24const_host_device_scalarIS3_EEb,"axG",@progbits,_ZN9rocsparseL21copy_and_scale_kernelILj256E21rocsparse_complex_numIdEEEvlPKT0_PS3_NS_24const_host_device_scalarIS3_EEb,comdat
	.globl	_ZN9rocsparseL21copy_and_scale_kernelILj256E21rocsparse_complex_numIdEEEvlPKT0_PS3_NS_24const_host_device_scalarIS3_EEb ; -- Begin function _ZN9rocsparseL21copy_and_scale_kernelILj256E21rocsparse_complex_numIdEEEvlPKT0_PS3_NS_24const_host_device_scalarIS3_EEb
	.p2align	8
	.type	_ZN9rocsparseL21copy_and_scale_kernelILj256E21rocsparse_complex_numIdEEEvlPKT0_PS3_NS_24const_host_device_scalarIS3_EEb,@function
_ZN9rocsparseL21copy_and_scale_kernelILj256E21rocsparse_complex_numIdEEEvlPKT0_PS3_NS_24const_host_device_scalarIS3_EEb: ; @_ZN9rocsparseL21copy_and_scale_kernelILj256E21rocsparse_complex_numIdEEEvlPKT0_PS3_NS_24const_host_device_scalarIS3_EEb
; %bb.0:
	s_add_u32 flat_scratch_lo, s6, s9
	s_addc_u32 flat_scratch_hi, s7, 0
	s_mov_b64 s[6:7], src_private_base
	s_load_dword s6, s[4:5], 0x28
	s_load_dwordx8 s[12:19], s[4:5], 0x0
	s_add_u32 s0, s0, s9
	s_addc_u32 s1, s1, 0
	s_load_dwordx2 s[4:5], s[4:5], 0x20
	s_waitcnt lgkmcnt(0)
	s_bitcmp1_b32 s6, 0
	s_cselect_b64 s[10:11], -1, 0
	v_mov_b32_e32 v1, s19
	s_and_b64 vcc, s[10:11], exec
	buffer_store_dword v1, off, s[0:3], 0 offset:4
	v_mov_b32_e32 v1, s18
	s_cselect_b32 s6, s7, s19
	s_cselect_b32 s7, 0, s18
	buffer_store_dword v1, off, s[0:3], 0
	v_mov_b32_e32 v1, s7
	v_mov_b32_e32 v2, s6
	flat_load_dwordx2 v[4:5], v[1:2]
	v_mov_b32_e32 v7, s5
	v_mov_b32_e32 v6, s4
	s_cbranch_vccnz .LBB81_2
; %bb.1:
	v_mov_b32_e32 v1, s18
	v_mov_b32_e32 v2, s19
	flat_load_dwordx2 v[6:7], v[1:2] offset:8
.LBB81_2:
	v_lshl_or_b32 v2, s8, 8, v0
	v_mov_b32_e32 v3, 0
	v_cmp_gt_i64_e32 vcc, s[12:13], v[2:3]
	s_and_saveexec_b64 s[4:5], vcc
	s_cbranch_execz .LBB81_6
; %bb.3:
	s_waitcnt vmcnt(0) lgkmcnt(0)
	v_cmp_neq_f64_e32 vcc, 0, v[4:5]
	v_cmp_neq_f64_e64 s[4:5], 0, v[6:7]
	v_mov_b32_e32 v0, 0
	v_lshlrev_b64 v[8:9], 4, v[2:3]
	v_mov_b32_e32 v2, 0
	v_mov_b32_e32 v1, 0
	v_mov_b32_e32 v3, 0
	s_or_b64 s[6:7], vcc, s[4:5]
	s_and_saveexec_b64 s[4:5], s[6:7]
	s_cbranch_execz .LBB81_5
; %bb.4:
	v_mov_b32_e32 v1, s15
	v_add_co_u32_e32 v0, vcc, s14, v8
	v_addc_co_u32_e32 v1, vcc, v1, v9, vcc
	global_load_dwordx4 v[0:3], v[0:1], off
	s_waitcnt vmcnt(0)
	v_mul_f64 v[10:11], v[6:7], -v[2:3]
	v_mul_f64 v[6:7], v[6:7], v[0:1]
	v_fma_f64 v[0:1], v[0:1], v[4:5], v[10:11]
	v_fma_f64 v[2:3], v[2:3], v[4:5], v[6:7]
.LBB81_5:
	s_or_b64 exec, exec, s[4:5]
	v_mov_b32_e32 v5, s17
	v_add_co_u32_e32 v4, vcc, s16, v8
	v_addc_co_u32_e32 v5, vcc, v5, v9, vcc
	global_store_dwordx4 v[4:5], v[0:3], off
.LBB81_6:
	s_endpgm
	.section	.rodata,"a",@progbits
	.p2align	6, 0x0
	.amdhsa_kernel _ZN9rocsparseL21copy_and_scale_kernelILj256E21rocsparse_complex_numIdEEEvlPKT0_PS3_NS_24const_host_device_scalarIS3_EEb
		.amdhsa_group_segment_fixed_size 0
		.amdhsa_private_segment_fixed_size 16
		.amdhsa_kernarg_size 44
		.amdhsa_user_sgpr_count 8
		.amdhsa_user_sgpr_private_segment_buffer 1
		.amdhsa_user_sgpr_dispatch_ptr 0
		.amdhsa_user_sgpr_queue_ptr 0
		.amdhsa_user_sgpr_kernarg_segment_ptr 1
		.amdhsa_user_sgpr_dispatch_id 0
		.amdhsa_user_sgpr_flat_scratch_init 1
		.amdhsa_user_sgpr_private_segment_size 0
		.amdhsa_uses_dynamic_stack 0
		.amdhsa_system_sgpr_private_segment_wavefront_offset 1
		.amdhsa_system_sgpr_workgroup_id_x 1
		.amdhsa_system_sgpr_workgroup_id_y 0
		.amdhsa_system_sgpr_workgroup_id_z 0
		.amdhsa_system_sgpr_workgroup_info 0
		.amdhsa_system_vgpr_workitem_id 0
		.amdhsa_next_free_vgpr 12
		.amdhsa_next_free_sgpr 20
		.amdhsa_reserve_vcc 1
		.amdhsa_reserve_flat_scratch 1
		.amdhsa_float_round_mode_32 0
		.amdhsa_float_round_mode_16_64 0
		.amdhsa_float_denorm_mode_32 3
		.amdhsa_float_denorm_mode_16_64 3
		.amdhsa_dx10_clamp 1
		.amdhsa_ieee_mode 1
		.amdhsa_fp16_overflow 0
		.amdhsa_exception_fp_ieee_invalid_op 0
		.amdhsa_exception_fp_denorm_src 0
		.amdhsa_exception_fp_ieee_div_zero 0
		.amdhsa_exception_fp_ieee_overflow 0
		.amdhsa_exception_fp_ieee_underflow 0
		.amdhsa_exception_fp_ieee_inexact 0
		.amdhsa_exception_int_div_zero 0
	.end_amdhsa_kernel
	.section	.text._ZN9rocsparseL21copy_and_scale_kernelILj256E21rocsparse_complex_numIdEEEvlPKT0_PS3_NS_24const_host_device_scalarIS3_EEb,"axG",@progbits,_ZN9rocsparseL21copy_and_scale_kernelILj256E21rocsparse_complex_numIdEEEvlPKT0_PS3_NS_24const_host_device_scalarIS3_EEb,comdat
.Lfunc_end81:
	.size	_ZN9rocsparseL21copy_and_scale_kernelILj256E21rocsparse_complex_numIdEEEvlPKT0_PS3_NS_24const_host_device_scalarIS3_EEb, .Lfunc_end81-_ZN9rocsparseL21copy_and_scale_kernelILj256E21rocsparse_complex_numIdEEEvlPKT0_PS3_NS_24const_host_device_scalarIS3_EEb
                                        ; -- End function
	.set _ZN9rocsparseL21copy_and_scale_kernelILj256E21rocsparse_complex_numIdEEEvlPKT0_PS3_NS_24const_host_device_scalarIS3_EEb.num_vgpr, 12
	.set _ZN9rocsparseL21copy_and_scale_kernelILj256E21rocsparse_complex_numIdEEEvlPKT0_PS3_NS_24const_host_device_scalarIS3_EEb.num_agpr, 0
	.set _ZN9rocsparseL21copy_and_scale_kernelILj256E21rocsparse_complex_numIdEEEvlPKT0_PS3_NS_24const_host_device_scalarIS3_EEb.numbered_sgpr, 20
	.set _ZN9rocsparseL21copy_and_scale_kernelILj256E21rocsparse_complex_numIdEEEvlPKT0_PS3_NS_24const_host_device_scalarIS3_EEb.num_named_barrier, 0
	.set _ZN9rocsparseL21copy_and_scale_kernelILj256E21rocsparse_complex_numIdEEEvlPKT0_PS3_NS_24const_host_device_scalarIS3_EEb.private_seg_size, 16
	.set _ZN9rocsparseL21copy_and_scale_kernelILj256E21rocsparse_complex_numIdEEEvlPKT0_PS3_NS_24const_host_device_scalarIS3_EEb.uses_vcc, 1
	.set _ZN9rocsparseL21copy_and_scale_kernelILj256E21rocsparse_complex_numIdEEEvlPKT0_PS3_NS_24const_host_device_scalarIS3_EEb.uses_flat_scratch, 1
	.set _ZN9rocsparseL21copy_and_scale_kernelILj256E21rocsparse_complex_numIdEEEvlPKT0_PS3_NS_24const_host_device_scalarIS3_EEb.has_dyn_sized_stack, 0
	.set _ZN9rocsparseL21copy_and_scale_kernelILj256E21rocsparse_complex_numIdEEEvlPKT0_PS3_NS_24const_host_device_scalarIS3_EEb.has_recursion, 0
	.set _ZN9rocsparseL21copy_and_scale_kernelILj256E21rocsparse_complex_numIdEEEvlPKT0_PS3_NS_24const_host_device_scalarIS3_EEb.has_indirect_call, 0
	.section	.AMDGPU.csdata,"",@progbits
; Kernel info:
; codeLenInByte = 296
; TotalNumSgprs: 26
; NumVgprs: 12
; ScratchSize: 16
; MemoryBound: 0
; FloatMode: 240
; IeeeMode: 1
; LDSByteSize: 0 bytes/workgroup (compile time only)
; SGPRBlocks: 3
; VGPRBlocks: 2
; NumSGPRsForWavesPerEU: 26
; NumVGPRsForWavesPerEU: 12
; Occupancy: 10
; WaveLimiterHint : 0
; COMPUTE_PGM_RSRC2:SCRATCH_EN: 1
; COMPUTE_PGM_RSRC2:USER_SGPR: 8
; COMPUTE_PGM_RSRC2:TRAP_HANDLER: 0
; COMPUTE_PGM_RSRC2:TGID_X_EN: 1
; COMPUTE_PGM_RSRC2:TGID_Y_EN: 0
; COMPUTE_PGM_RSRC2:TGID_Z_EN: 0
; COMPUTE_PGM_RSRC2:TIDIG_COMP_CNT: 0
	.section	.AMDGPU.gpr_maximums,"",@progbits
	.set amdgpu.max_num_vgpr, 0
	.set amdgpu.max_num_agpr, 0
	.set amdgpu.max_num_sgpr, 0
	.section	.AMDGPU.csdata,"",@progbits
	.type	__hip_cuid_18ed954ede8fcd09,@object ; @__hip_cuid_18ed954ede8fcd09
	.section	.bss,"aw",@nobits
	.globl	__hip_cuid_18ed954ede8fcd09
__hip_cuid_18ed954ede8fcd09:
	.byte	0                               ; 0x0
	.size	__hip_cuid_18ed954ede8fcd09, 1

	.ident	"AMD clang version 22.0.0git (https://github.com/RadeonOpenCompute/llvm-project roc-7.2.4 26084 f58b06dce1f9c15707c5f808fd002e18c2accf7e)"
	.section	".note.GNU-stack","",@progbits
	.addrsig
	.addrsig_sym __hip_cuid_18ed954ede8fcd09
	.amdgpu_metadata
---
amdhsa.kernels:
  - .args:
      - .offset:         0
        .size:           4
        .value_kind:     by_value
      - .offset:         4
        .size:           4
        .value_kind:     by_value
      - .offset:         8
        .size:           4
        .value_kind:     by_value
      - .address_space:  global
        .offset:         16
        .size:           8
        .value_kind:     global_buffer
      - .offset:         24
        .size:           8
        .value_kind:     by_value
      - .address_space:  global
        .offset:         32
        .size:           8
        .value_kind:     global_buffer
      - .offset:         40
        .size:           8
        .value_kind:     by_value
    .group_segment_fixed_size: 4096
    .kernarg_segment_align: 8
    .kernarg_segment_size: 48
    .language:       OpenCL C
    .language_version:
      - 2
      - 0
    .max_flat_workgroup_size: 256
    .name:           _ZN9rocsparseL22dense_transpose_kernelILj32ELj8EiffEEvT1_S1_T3_PKT2_lPS3_l
    .private_segment_fixed_size: 0
    .sgpr_count:     28
    .sgpr_spill_count: 0
    .symbol:         _ZN9rocsparseL22dense_transpose_kernelILj32ELj8EiffEEvT1_S1_T3_PKT2_lPS3_l.kd
    .uniform_work_group_size: 1
    .uses_dynamic_stack: false
    .vgpr_count:     19
    .vgpr_spill_count: 0
    .wavefront_size: 64
  - .args:
      - .offset:         0
        .size:           4
        .value_kind:     by_value
      - .offset:         4
        .size:           4
        .value_kind:     by_value
      - .address_space:  global
        .offset:         8
        .size:           8
        .value_kind:     global_buffer
      - .address_space:  global
        .offset:         16
        .size:           8
        .value_kind:     global_buffer
      - .offset:         24
        .size:           8
        .value_kind:     by_value
      - .address_space:  global
        .offset:         32
        .size:           8
        .value_kind:     global_buffer
      - .offset:         40
        .size:           8
        .value_kind:     by_value
    .group_segment_fixed_size: 4096
    .kernarg_segment_align: 8
    .kernarg_segment_size: 48
    .language:       OpenCL C
    .language_version:
      - 2
      - 0
    .max_flat_workgroup_size: 256
    .name:           _ZN9rocsparseL22dense_transpose_kernelILj32ELj8EifPKfEEvT1_S3_T3_PKT2_lPS5_l
    .private_segment_fixed_size: 0
    .sgpr_count:     25
    .sgpr_spill_count: 0
    .symbol:         _ZN9rocsparseL22dense_transpose_kernelILj32ELj8EifPKfEEvT1_S3_T3_PKT2_lPS5_l.kd
    .uniform_work_group_size: 1
    .uses_dynamic_stack: false
    .vgpr_count:     19
    .vgpr_spill_count: 0
    .wavefront_size: 64
  - .args:
      - .offset:         0
        .size:           4
        .value_kind:     by_value
      - .offset:         4
        .size:           4
        .value_kind:     by_value
      - .offset:         8
        .size:           8
        .value_kind:     by_value
      - .address_space:  global
        .offset:         16
        .size:           8
        .value_kind:     global_buffer
      - .offset:         24
        .size:           8
        .value_kind:     by_value
      - .address_space:  global
        .offset:         32
        .size:           8
        .value_kind:     global_buffer
      - .offset:         40
        .size:           8
        .value_kind:     by_value
    .group_segment_fixed_size: 8192
    .kernarg_segment_align: 8
    .kernarg_segment_size: 48
    .language:       OpenCL C
    .language_version:
      - 2
      - 0
    .max_flat_workgroup_size: 256
    .name:           _ZN9rocsparseL22dense_transpose_kernelILj32ELj8EiddEEvT1_S1_T3_PKT2_lPS3_l
    .private_segment_fixed_size: 0
    .sgpr_count:     26
    .sgpr_spill_count: 0
    .symbol:         _ZN9rocsparseL22dense_transpose_kernelILj32ELj8EiddEEvT1_S1_T3_PKT2_lPS3_l.kd
    .uniform_work_group_size: 1
    .uses_dynamic_stack: false
    .vgpr_count:     21
    .vgpr_spill_count: 0
    .wavefront_size: 64
  - .args:
      - .offset:         0
        .size:           4
        .value_kind:     by_value
      - .offset:         4
        .size:           4
        .value_kind:     by_value
      - .address_space:  global
        .offset:         8
        .size:           8
        .value_kind:     global_buffer
      - .address_space:  global
        .offset:         16
        .size:           8
        .value_kind:     global_buffer
      - .offset:         24
        .size:           8
        .value_kind:     by_value
      - .address_space:  global
        .offset:         32
        .size:           8
        .value_kind:     global_buffer
      - .offset:         40
        .size:           8
        .value_kind:     by_value
    .group_segment_fixed_size: 8192
    .kernarg_segment_align: 8
    .kernarg_segment_size: 48
    .language:       OpenCL C
    .language_version:
      - 2
      - 0
    .max_flat_workgroup_size: 256
    .name:           _ZN9rocsparseL22dense_transpose_kernelILj32ELj8EidPKdEEvT1_S3_T3_PKT2_lPS5_l
    .private_segment_fixed_size: 0
    .sgpr_count:     26
    .sgpr_spill_count: 0
    .symbol:         _ZN9rocsparseL22dense_transpose_kernelILj32ELj8EidPKdEEvT1_S3_T3_PKT2_lPS5_l.kd
    .uniform_work_group_size: 1
    .uses_dynamic_stack: false
    .vgpr_count:     21
    .vgpr_spill_count: 0
    .wavefront_size: 64
  - .args:
      - .offset:         0
        .size:           4
        .value_kind:     by_value
      - .offset:         4
        .size:           4
        .value_kind:     by_value
      - .offset:         8
        .size:           8
        .value_kind:     by_value
      - .address_space:  global
        .offset:         16
        .size:           8
        .value_kind:     global_buffer
      - .offset:         24
        .size:           8
        .value_kind:     by_value
      - .address_space:  global
        .offset:         32
        .size:           8
        .value_kind:     global_buffer
      - .offset:         40
        .size:           8
        .value_kind:     by_value
    .group_segment_fixed_size: 8192
    .kernarg_segment_align: 8
    .kernarg_segment_size: 48
    .language:       OpenCL C
    .language_version:
      - 2
      - 0
    .max_flat_workgroup_size: 256
    .name:           _ZN9rocsparseL22dense_transpose_kernelILj32ELj8Ei21rocsparse_complex_numIfES2_EEvT1_S3_T3_PKT2_lPS5_l
    .private_segment_fixed_size: 0
    .sgpr_count:     28
    .sgpr_spill_count: 0
    .symbol:         _ZN9rocsparseL22dense_transpose_kernelILj32ELj8Ei21rocsparse_complex_numIfES2_EEvT1_S3_T3_PKT2_lPS5_l.kd
    .uniform_work_group_size: 1
    .uses_dynamic_stack: false
    .vgpr_count:     21
    .vgpr_spill_count: 0
    .wavefront_size: 64
  - .args:
      - .offset:         0
        .size:           4
        .value_kind:     by_value
      - .offset:         4
        .size:           4
        .value_kind:     by_value
      - .address_space:  global
        .offset:         8
        .size:           8
        .value_kind:     global_buffer
      - .address_space:  global
        .offset:         16
        .size:           8
        .value_kind:     global_buffer
      - .offset:         24
        .size:           8
        .value_kind:     by_value
      - .address_space:  global
        .offset:         32
        .size:           8
        .value_kind:     global_buffer
      - .offset:         40
        .size:           8
        .value_kind:     by_value
    .group_segment_fixed_size: 8192
    .kernarg_segment_align: 8
    .kernarg_segment_size: 48
    .language:       OpenCL C
    .language_version:
      - 2
      - 0
    .max_flat_workgroup_size: 256
    .name:           _ZN9rocsparseL22dense_transpose_kernelILj32ELj8Ei21rocsparse_complex_numIfEPKS2_EEvT1_S5_T3_PKT2_lPS7_l
    .private_segment_fixed_size: 0
    .sgpr_count:     26
    .sgpr_spill_count: 0
    .symbol:         _ZN9rocsparseL22dense_transpose_kernelILj32ELj8Ei21rocsparse_complex_numIfEPKS2_EEvT1_S5_T3_PKT2_lPS7_l.kd
    .uniform_work_group_size: 1
    .uses_dynamic_stack: false
    .vgpr_count:     21
    .vgpr_spill_count: 0
    .wavefront_size: 64
  - .args:
      - .offset:         0
        .size:           4
        .value_kind:     by_value
      - .offset:         4
        .size:           4
        .value_kind:     by_value
      - .offset:         8
        .size:           16
        .value_kind:     by_value
      - .address_space:  global
        .offset:         24
        .size:           8
        .value_kind:     global_buffer
      - .offset:         32
        .size:           8
        .value_kind:     by_value
      - .address_space:  global
        .offset:         40
        .size:           8
        .value_kind:     global_buffer
      - .offset:         48
        .size:           8
        .value_kind:     by_value
    .group_segment_fixed_size: 16384
    .kernarg_segment_align: 8
    .kernarg_segment_size: 56
    .language:       OpenCL C
    .language_version:
      - 2
      - 0
    .max_flat_workgroup_size: 256
    .name:           _ZN9rocsparseL22dense_transpose_kernelILj32ELj8Ei21rocsparse_complex_numIdES2_EEvT1_S3_T3_PKT2_lPS5_l
    .private_segment_fixed_size: 0
    .sgpr_count:     30
    .sgpr_spill_count: 0
    .symbol:         _ZN9rocsparseL22dense_transpose_kernelILj32ELj8Ei21rocsparse_complex_numIdES2_EEvT1_S3_T3_PKT2_lPS5_l.kd
    .uniform_work_group_size: 1
    .uses_dynamic_stack: false
    .vgpr_count:     28
    .vgpr_spill_count: 0
    .wavefront_size: 64
  - .args:
      - .offset:         0
        .size:           4
        .value_kind:     by_value
      - .offset:         4
        .size:           4
        .value_kind:     by_value
      - .address_space:  global
        .offset:         8
        .size:           8
        .value_kind:     global_buffer
      - .address_space:  global
        .offset:         16
        .size:           8
        .value_kind:     global_buffer
      - .offset:         24
        .size:           8
        .value_kind:     by_value
      - .address_space:  global
        .offset:         32
        .size:           8
        .value_kind:     global_buffer
      - .offset:         40
        .size:           8
        .value_kind:     by_value
    .group_segment_fixed_size: 16384
    .kernarg_segment_align: 8
    .kernarg_segment_size: 48
    .language:       OpenCL C
    .language_version:
      - 2
      - 0
    .max_flat_workgroup_size: 256
    .name:           _ZN9rocsparseL22dense_transpose_kernelILj32ELj8Ei21rocsparse_complex_numIdEPKS2_EEvT1_S5_T3_PKT2_lPS7_l
    .private_segment_fixed_size: 0
    .sgpr_count:     28
    .sgpr_spill_count: 0
    .symbol:         _ZN9rocsparseL22dense_transpose_kernelILj32ELj8Ei21rocsparse_complex_numIdEPKS2_EEvT1_S5_T3_PKT2_lPS7_l.kd
    .uniform_work_group_size: 1
    .uses_dynamic_stack: false
    .vgpr_count:     28
    .vgpr_spill_count: 0
    .wavefront_size: 64
  - .args:
      - .offset:         0
        .size:           8
        .value_kind:     by_value
      - .offset:         8
        .size:           8
        .value_kind:     by_value
      - .offset:         16
        .size:           4
        .value_kind:     by_value
      - .address_space:  global
        .offset:         24
        .size:           8
        .value_kind:     global_buffer
      - .offset:         32
        .size:           8
        .value_kind:     by_value
      - .address_space:  global
        .offset:         40
        .size:           8
        .value_kind:     global_buffer
      - .offset:         48
        .size:           8
        .value_kind:     by_value
    .group_segment_fixed_size: 4096
    .kernarg_segment_align: 8
    .kernarg_segment_size: 56
    .language:       OpenCL C
    .language_version:
      - 2
      - 0
    .max_flat_workgroup_size: 256
    .name:           _ZN9rocsparseL22dense_transpose_kernelILj32ELj8ElffEEvT1_S1_T3_PKT2_lPS3_l
    .private_segment_fixed_size: 0
    .sgpr_count:     28
    .sgpr_spill_count: 0
    .symbol:         _ZN9rocsparseL22dense_transpose_kernelILj32ELj8ElffEEvT1_S1_T3_PKT2_lPS3_l.kd
    .uniform_work_group_size: 1
    .uses_dynamic_stack: false
    .vgpr_count:     27
    .vgpr_spill_count: 0
    .wavefront_size: 64
  - .args:
      - .offset:         0
        .size:           8
        .value_kind:     by_value
      - .offset:         8
        .size:           8
        .value_kind:     by_value
      - .address_space:  global
        .offset:         16
        .size:           8
        .value_kind:     global_buffer
      - .address_space:  global
        .offset:         24
        .size:           8
        .value_kind:     global_buffer
      - .offset:         32
        .size:           8
        .value_kind:     by_value
      - .address_space:  global
        .offset:         40
        .size:           8
        .value_kind:     global_buffer
      - .offset:         48
        .size:           8
        .value_kind:     by_value
    .group_segment_fixed_size: 4096
    .kernarg_segment_align: 8
    .kernarg_segment_size: 56
    .language:       OpenCL C
    .language_version:
      - 2
      - 0
    .max_flat_workgroup_size: 256
    .name:           _ZN9rocsparseL22dense_transpose_kernelILj32ELj8ElfPKfEEvT1_S3_T3_PKT2_lPS5_l
    .private_segment_fixed_size: 0
    .sgpr_count:     32
    .sgpr_spill_count: 0
    .symbol:         _ZN9rocsparseL22dense_transpose_kernelILj32ELj8ElfPKfEEvT1_S3_T3_PKT2_lPS5_l.kd
    .uniform_work_group_size: 1
    .uses_dynamic_stack: false
    .vgpr_count:     27
    .vgpr_spill_count: 0
    .wavefront_size: 64
  - .args:
      - .offset:         0
        .size:           8
        .value_kind:     by_value
      - .offset:         8
        .size:           8
        .value_kind:     by_value
      - .offset:         16
        .size:           8
        .value_kind:     by_value
      - .address_space:  global
        .offset:         24
        .size:           8
        .value_kind:     global_buffer
      - .offset:         32
        .size:           8
        .value_kind:     by_value
      - .address_space:  global
        .offset:         40
        .size:           8
        .value_kind:     global_buffer
      - .offset:         48
        .size:           8
        .value_kind:     by_value
    .group_segment_fixed_size: 8192
    .kernarg_segment_align: 8
    .kernarg_segment_size: 56
    .language:       OpenCL C
    .language_version:
      - 2
      - 0
    .max_flat_workgroup_size: 256
    .name:           _ZN9rocsparseL22dense_transpose_kernelILj32ELj8ElddEEvT1_S1_T3_PKT2_lPS3_l
    .private_segment_fixed_size: 0
    .sgpr_count:     32
    .sgpr_spill_count: 0
    .symbol:         _ZN9rocsparseL22dense_transpose_kernelILj32ELj8ElddEEvT1_S1_T3_PKT2_lPS3_l.kd
    .uniform_work_group_size: 1
    .uses_dynamic_stack: false
    .vgpr_count:     30
    .vgpr_spill_count: 0
    .wavefront_size: 64
  - .args:
      - .offset:         0
        .size:           8
        .value_kind:     by_value
      - .offset:         8
        .size:           8
        .value_kind:     by_value
      - .address_space:  global
        .offset:         16
        .size:           8
        .value_kind:     global_buffer
      - .address_space:  global
        .offset:         24
        .size:           8
        .value_kind:     global_buffer
      - .offset:         32
        .size:           8
        .value_kind:     by_value
      - .address_space:  global
        .offset:         40
        .size:           8
        .value_kind:     global_buffer
      - .offset:         48
        .size:           8
        .value_kind:     by_value
    .group_segment_fixed_size: 8192
    .kernarg_segment_align: 8
    .kernarg_segment_size: 56
    .language:       OpenCL C
    .language_version:
      - 2
      - 0
    .max_flat_workgroup_size: 256
    .name:           _ZN9rocsparseL22dense_transpose_kernelILj32ELj8EldPKdEEvT1_S3_T3_PKT2_lPS5_l
    .private_segment_fixed_size: 0
    .sgpr_count:     32
    .sgpr_spill_count: 0
    .symbol:         _ZN9rocsparseL22dense_transpose_kernelILj32ELj8EldPKdEEvT1_S3_T3_PKT2_lPS5_l.kd
    .uniform_work_group_size: 1
    .uses_dynamic_stack: false
    .vgpr_count:     30
    .vgpr_spill_count: 0
    .wavefront_size: 64
  - .args:
      - .offset:         0
        .size:           8
        .value_kind:     by_value
      - .offset:         8
        .size:           8
        .value_kind:     by_value
      - .offset:         16
        .size:           8
        .value_kind:     by_value
      - .address_space:  global
        .offset:         24
        .size:           8
        .value_kind:     global_buffer
      - .offset:         32
        .size:           8
        .value_kind:     by_value
      - .address_space:  global
        .offset:         40
        .size:           8
        .value_kind:     global_buffer
      - .offset:         48
        .size:           8
        .value_kind:     by_value
    .group_segment_fixed_size: 8192
    .kernarg_segment_align: 8
    .kernarg_segment_size: 56
    .language:       OpenCL C
    .language_version:
      - 2
      - 0
    .max_flat_workgroup_size: 256
    .name:           _ZN9rocsparseL22dense_transpose_kernelILj32ELj8El21rocsparse_complex_numIfES2_EEvT1_S3_T3_PKT2_lPS5_l
    .private_segment_fixed_size: 0
    .sgpr_count:     30
    .sgpr_spill_count: 0
    .symbol:         _ZN9rocsparseL22dense_transpose_kernelILj32ELj8El21rocsparse_complex_numIfES2_EEvT1_S3_T3_PKT2_lPS5_l.kd
    .uniform_work_group_size: 1
    .uses_dynamic_stack: false
    .vgpr_count:     28
    .vgpr_spill_count: 0
    .wavefront_size: 64
  - .args:
      - .offset:         0
        .size:           8
        .value_kind:     by_value
      - .offset:         8
        .size:           8
        .value_kind:     by_value
      - .address_space:  global
        .offset:         16
        .size:           8
        .value_kind:     global_buffer
      - .address_space:  global
        .offset:         24
        .size:           8
        .value_kind:     global_buffer
      - .offset:         32
        .size:           8
        .value_kind:     by_value
      - .address_space:  global
        .offset:         40
        .size:           8
        .value_kind:     global_buffer
      - .offset:         48
        .size:           8
        .value_kind:     by_value
    .group_segment_fixed_size: 8192
    .kernarg_segment_align: 8
    .kernarg_segment_size: 56
    .language:       OpenCL C
    .language_version:
      - 2
      - 0
    .max_flat_workgroup_size: 256
    .name:           _ZN9rocsparseL22dense_transpose_kernelILj32ELj8El21rocsparse_complex_numIfEPKS2_EEvT1_S5_T3_PKT2_lPS7_l
    .private_segment_fixed_size: 0
    .sgpr_count:     32
    .sgpr_spill_count: 0
    .symbol:         _ZN9rocsparseL22dense_transpose_kernelILj32ELj8El21rocsparse_complex_numIfEPKS2_EEvT1_S5_T3_PKT2_lPS7_l.kd
    .uniform_work_group_size: 1
    .uses_dynamic_stack: false
    .vgpr_count:     28
    .vgpr_spill_count: 0
    .wavefront_size: 64
  - .args:
      - .offset:         0
        .size:           8
        .value_kind:     by_value
      - .offset:         8
        .size:           8
        .value_kind:     by_value
      - .offset:         16
        .size:           16
        .value_kind:     by_value
      - .address_space:  global
        .offset:         32
        .size:           8
        .value_kind:     global_buffer
      - .offset:         40
        .size:           8
        .value_kind:     by_value
      - .address_space:  global
        .offset:         48
        .size:           8
        .value_kind:     global_buffer
      - .offset:         56
        .size:           8
        .value_kind:     by_value
    .group_segment_fixed_size: 16384
    .kernarg_segment_align: 8
    .kernarg_segment_size: 64
    .language:       OpenCL C
    .language_version:
      - 2
      - 0
    .max_flat_workgroup_size: 256
    .name:           _ZN9rocsparseL22dense_transpose_kernelILj32ELj8El21rocsparse_complex_numIdES2_EEvT1_S3_T3_PKT2_lPS5_l
    .private_segment_fixed_size: 0
    .sgpr_count:     32
    .sgpr_spill_count: 0
    .symbol:         _ZN9rocsparseL22dense_transpose_kernelILj32ELj8El21rocsparse_complex_numIdES2_EEvT1_S3_T3_PKT2_lPS5_l.kd
    .uniform_work_group_size: 1
    .uses_dynamic_stack: false
    .vgpr_count:     37
    .vgpr_spill_count: 0
    .wavefront_size: 64
  - .args:
      - .offset:         0
        .size:           8
        .value_kind:     by_value
      - .offset:         8
        .size:           8
        .value_kind:     by_value
      - .address_space:  global
        .offset:         16
        .size:           8
        .value_kind:     global_buffer
      - .address_space:  global
        .offset:         24
        .size:           8
        .value_kind:     global_buffer
      - .offset:         32
        .size:           8
        .value_kind:     by_value
      - .address_space:  global
        .offset:         40
        .size:           8
        .value_kind:     global_buffer
      - .offset:         48
        .size:           8
        .value_kind:     by_value
    .group_segment_fixed_size: 16384
    .kernarg_segment_align: 8
    .kernarg_segment_size: 56
    .language:       OpenCL C
    .language_version:
      - 2
      - 0
    .max_flat_workgroup_size: 256
    .name:           _ZN9rocsparseL22dense_transpose_kernelILj32ELj8El21rocsparse_complex_numIdEPKS2_EEvT1_S5_T3_PKT2_lPS7_l
    .private_segment_fixed_size: 0
    .sgpr_count:     36
    .sgpr_spill_count: 0
    .symbol:         _ZN9rocsparseL22dense_transpose_kernelILj32ELj8El21rocsparse_complex_numIdEPKS2_EEvT1_S5_T3_PKT2_lPS7_l.kd
    .uniform_work_group_size: 1
    .uses_dynamic_stack: false
    .vgpr_count:     37
    .vgpr_spill_count: 0
    .wavefront_size: 64
  - .args:
      - .offset:         0
        .size:           4
        .value_kind:     by_value
      - .offset:         4
        .size:           4
        .value_kind:     by_value
      - .address_space:  global
        .offset:         8
        .size:           8
        .value_kind:     global_buffer
      - .offset:         16
        .size:           8
        .value_kind:     by_value
      - .address_space:  global
        .offset:         24
        .size:           8
        .value_kind:     global_buffer
      - .offset:         32
        .size:           8
        .value_kind:     by_value
    .group_segment_fixed_size: 4096
    .kernarg_segment_align: 8
    .kernarg_segment_size: 40
    .language:       OpenCL C
    .language_version:
      - 2
      - 0
    .max_flat_workgroup_size: 256
    .name:           _ZN9rocsparseL27dense_transpose_back_kernelILj32ELj8EifEEvT1_S1_PKT2_lPS2_l
    .private_segment_fixed_size: 0
    .sgpr_count:     26
    .sgpr_spill_count: 0
    .symbol:         _ZN9rocsparseL27dense_transpose_back_kernelILj32ELj8EifEEvT1_S1_PKT2_lPS2_l.kd
    .uniform_work_group_size: 1
    .uses_dynamic_stack: false
    .vgpr_count:     20
    .vgpr_spill_count: 0
    .wavefront_size: 64
  - .args:
      - .offset:         0
        .size:           4
        .value_kind:     by_value
      - .offset:         4
        .size:           4
        .value_kind:     by_value
      - .address_space:  global
        .offset:         8
        .size:           8
        .value_kind:     global_buffer
      - .offset:         16
        .size:           8
        .value_kind:     by_value
      - .address_space:  global
        .offset:         24
        .size:           8
        .value_kind:     global_buffer
      - .offset:         32
        .size:           8
        .value_kind:     by_value
    .group_segment_fixed_size: 8192
    .kernarg_segment_align: 8
    .kernarg_segment_size: 40
    .language:       OpenCL C
    .language_version:
      - 2
      - 0
    .max_flat_workgroup_size: 256
    .name:           _ZN9rocsparseL27dense_transpose_back_kernelILj32ELj8EidEEvT1_S1_PKT2_lPS2_l
    .private_segment_fixed_size: 0
    .sgpr_count:     26
    .sgpr_spill_count: 0
    .symbol:         _ZN9rocsparseL27dense_transpose_back_kernelILj32ELj8EidEEvT1_S1_PKT2_lPS2_l.kd
    .uniform_work_group_size: 1
    .uses_dynamic_stack: false
    .vgpr_count:     21
    .vgpr_spill_count: 0
    .wavefront_size: 64
  - .args:
      - .offset:         0
        .size:           4
        .value_kind:     by_value
      - .offset:         4
        .size:           4
        .value_kind:     by_value
      - .address_space:  global
        .offset:         8
        .size:           8
        .value_kind:     global_buffer
      - .offset:         16
        .size:           8
        .value_kind:     by_value
      - .address_space:  global
        .offset:         24
        .size:           8
        .value_kind:     global_buffer
      - .offset:         32
        .size:           8
        .value_kind:     by_value
    .group_segment_fixed_size: 8192
    .kernarg_segment_align: 8
    .kernarg_segment_size: 40
    .language:       OpenCL C
    .language_version:
      - 2
      - 0
    .max_flat_workgroup_size: 256
    .name:           _ZN9rocsparseL27dense_transpose_back_kernelILj32ELj8Ei21rocsparse_complex_numIfEEEvT1_S3_PKT2_lPS4_l
    .private_segment_fixed_size: 0
    .sgpr_count:     26
    .sgpr_spill_count: 0
    .symbol:         _ZN9rocsparseL27dense_transpose_back_kernelILj32ELj8Ei21rocsparse_complex_numIfEEEvT1_S3_PKT2_lPS4_l.kd
    .uniform_work_group_size: 1
    .uses_dynamic_stack: false
    .vgpr_count:     21
    .vgpr_spill_count: 0
    .wavefront_size: 64
  - .args:
      - .offset:         0
        .size:           4
        .value_kind:     by_value
      - .offset:         4
        .size:           4
        .value_kind:     by_value
      - .address_space:  global
        .offset:         8
        .size:           8
        .value_kind:     global_buffer
      - .offset:         16
        .size:           8
        .value_kind:     by_value
      - .address_space:  global
        .offset:         24
        .size:           8
        .value_kind:     global_buffer
      - .offset:         32
        .size:           8
        .value_kind:     by_value
    .group_segment_fixed_size: 16384
    .kernarg_segment_align: 8
    .kernarg_segment_size: 40
    .language:       OpenCL C
    .language_version:
      - 2
      - 0
    .max_flat_workgroup_size: 256
    .name:           _ZN9rocsparseL27dense_transpose_back_kernelILj32ELj8Ei21rocsparse_complex_numIdEEEvT1_S3_PKT2_lPS4_l
    .private_segment_fixed_size: 0
    .sgpr_count:     26
    .sgpr_spill_count: 0
    .symbol:         _ZN9rocsparseL27dense_transpose_back_kernelILj32ELj8Ei21rocsparse_complex_numIdEEEvT1_S3_PKT2_lPS4_l.kd
    .uniform_work_group_size: 1
    .uses_dynamic_stack: false
    .vgpr_count:     29
    .vgpr_spill_count: 0
    .wavefront_size: 64
  - .args:
      - .offset:         0
        .size:           8
        .value_kind:     by_value
      - .offset:         8
        .size:           8
        .value_kind:     by_value
      - .address_space:  global
        .offset:         16
        .size:           8
        .value_kind:     global_buffer
      - .offset:         24
        .size:           8
        .value_kind:     by_value
      - .address_space:  global
        .offset:         32
        .size:           8
        .value_kind:     global_buffer
      - .offset:         40
        .size:           8
        .value_kind:     by_value
    .group_segment_fixed_size: 4096
    .kernarg_segment_align: 8
    .kernarg_segment_size: 48
    .language:       OpenCL C
    .language_version:
      - 2
      - 0
    .max_flat_workgroup_size: 256
    .name:           _ZN9rocsparseL27dense_transpose_back_kernelILj32ELj8ElfEEvT1_S1_PKT2_lPS2_l
    .private_segment_fixed_size: 0
    .sgpr_count:     25
    .sgpr_spill_count: 0
    .symbol:         _ZN9rocsparseL27dense_transpose_back_kernelILj32ELj8ElfEEvT1_S1_PKT2_lPS2_l.kd
    .uniform_work_group_size: 1
    .uses_dynamic_stack: false
    .vgpr_count:     27
    .vgpr_spill_count: 0
    .wavefront_size: 64
  - .args:
      - .offset:         0
        .size:           8
        .value_kind:     by_value
      - .offset:         8
        .size:           8
        .value_kind:     by_value
      - .address_space:  global
        .offset:         16
        .size:           8
        .value_kind:     global_buffer
      - .offset:         24
        .size:           8
        .value_kind:     by_value
      - .address_space:  global
        .offset:         32
        .size:           8
        .value_kind:     global_buffer
      - .offset:         40
        .size:           8
        .value_kind:     by_value
    .group_segment_fixed_size: 8192
    .kernarg_segment_align: 8
    .kernarg_segment_size: 48
    .language:       OpenCL C
    .language_version:
      - 2
      - 0
    .max_flat_workgroup_size: 256
    .name:           _ZN9rocsparseL27dense_transpose_back_kernelILj32ELj8EldEEvT1_S1_PKT2_lPS2_l
    .private_segment_fixed_size: 0
    .sgpr_count:     28
    .sgpr_spill_count: 0
    .symbol:         _ZN9rocsparseL27dense_transpose_back_kernelILj32ELj8EldEEvT1_S1_PKT2_lPS2_l.kd
    .uniform_work_group_size: 1
    .uses_dynamic_stack: false
    .vgpr_count:     31
    .vgpr_spill_count: 0
    .wavefront_size: 64
  - .args:
      - .offset:         0
        .size:           8
        .value_kind:     by_value
      - .offset:         8
        .size:           8
        .value_kind:     by_value
      - .address_space:  global
        .offset:         16
        .size:           8
        .value_kind:     global_buffer
      - .offset:         24
        .size:           8
        .value_kind:     by_value
      - .address_space:  global
        .offset:         32
        .size:           8
        .value_kind:     global_buffer
      - .offset:         40
        .size:           8
        .value_kind:     by_value
    .group_segment_fixed_size: 8192
    .kernarg_segment_align: 8
    .kernarg_segment_size: 48
    .language:       OpenCL C
    .language_version:
      - 2
      - 0
    .max_flat_workgroup_size: 256
    .name:           _ZN9rocsparseL27dense_transpose_back_kernelILj32ELj8El21rocsparse_complex_numIfEEEvT1_S3_PKT2_lPS4_l
    .private_segment_fixed_size: 0
    .sgpr_count:     28
    .sgpr_spill_count: 0
    .symbol:         _ZN9rocsparseL27dense_transpose_back_kernelILj32ELj8El21rocsparse_complex_numIfEEEvT1_S3_PKT2_lPS4_l.kd
    .uniform_work_group_size: 1
    .uses_dynamic_stack: false
    .vgpr_count:     31
    .vgpr_spill_count: 0
    .wavefront_size: 64
  - .args:
      - .offset:         0
        .size:           8
        .value_kind:     by_value
      - .offset:         8
        .size:           8
        .value_kind:     by_value
      - .address_space:  global
        .offset:         16
        .size:           8
        .value_kind:     global_buffer
      - .offset:         24
        .size:           8
        .value_kind:     by_value
      - .address_space:  global
        .offset:         32
        .size:           8
        .value_kind:     global_buffer
      - .offset:         40
        .size:           8
        .value_kind:     by_value
    .group_segment_fixed_size: 16384
    .kernarg_segment_align: 8
    .kernarg_segment_size: 48
    .language:       OpenCL C
    .language_version:
      - 2
      - 0
    .max_flat_workgroup_size: 256
    .name:           _ZN9rocsparseL27dense_transpose_back_kernelILj32ELj8El21rocsparse_complex_numIdEEEvT1_S3_PKT2_lPS4_l
    .private_segment_fixed_size: 0
    .sgpr_count:     28
    .sgpr_spill_count: 0
    .symbol:         _ZN9rocsparseL27dense_transpose_back_kernelILj32ELj8El21rocsparse_complex_numIdEEEvT1_S3_PKT2_lPS4_l.kd
    .uniform_work_group_size: 1
    .uses_dynamic_stack: false
    .vgpr_count:     39
    .vgpr_spill_count: 0
    .wavefront_size: 64
  - .args:
      - .offset:         0
        .size:           4
        .value_kind:     by_value
      - .address_space:  global
        .offset:         8
        .size:           8
        .value_kind:     global_buffer
    .group_segment_fixed_size: 0
    .kernarg_segment_align: 8
    .kernarg_segment_size: 16
    .language:       OpenCL C
    .language_version:
      - 2
      - 0
    .max_flat_workgroup_size: 256
    .name:           _ZN9rocsparseL16conjugate_kernelILj256EifEEvT0_PT1_
    .private_segment_fixed_size: 0
    .sgpr_count:     4
    .sgpr_spill_count: 0
    .symbol:         _ZN9rocsparseL16conjugate_kernelILj256EifEEvT0_PT1_.kd
    .uniform_work_group_size: 1
    .uses_dynamic_stack: false
    .vgpr_count:     0
    .vgpr_spill_count: 0
    .wavefront_size: 64
  - .args:
      - .offset:         0
        .size:           4
        .value_kind:     by_value
      - .address_space:  global
        .offset:         8
        .size:           8
        .value_kind:     global_buffer
    .group_segment_fixed_size: 0
    .kernarg_segment_align: 8
    .kernarg_segment_size: 16
    .language:       OpenCL C
    .language_version:
      - 2
      - 0
    .max_flat_workgroup_size: 256
    .name:           _ZN9rocsparseL16conjugate_kernelILj256EidEEvT0_PT1_
    .private_segment_fixed_size: 0
    .sgpr_count:     4
    .sgpr_spill_count: 0
    .symbol:         _ZN9rocsparseL16conjugate_kernelILj256EidEEvT0_PT1_.kd
    .uniform_work_group_size: 1
    .uses_dynamic_stack: false
    .vgpr_count:     0
    .vgpr_spill_count: 0
    .wavefront_size: 64
  - .args:
      - .offset:         0
        .size:           4
        .value_kind:     by_value
      - .address_space:  global
        .offset:         8
        .size:           8
        .value_kind:     global_buffer
    .group_segment_fixed_size: 0
    .kernarg_segment_align: 8
    .kernarg_segment_size: 16
    .language:       OpenCL C
    .language_version:
      - 2
      - 0
    .max_flat_workgroup_size: 256
    .name:           _ZN9rocsparseL16conjugate_kernelILj256Ei21rocsparse_complex_numIfEEEvT0_PT1_
    .private_segment_fixed_size: 0
    .sgpr_count:     11
    .sgpr_spill_count: 0
    .symbol:         _ZN9rocsparseL16conjugate_kernelILj256Ei21rocsparse_complex_numIfEEEvT0_PT1_.kd
    .uniform_work_group_size: 1
    .uses_dynamic_stack: false
    .vgpr_count:     3
    .vgpr_spill_count: 0
    .wavefront_size: 64
  - .args:
      - .offset:         0
        .size:           4
        .value_kind:     by_value
      - .address_space:  global
        .offset:         8
        .size:           8
        .value_kind:     global_buffer
    .group_segment_fixed_size: 0
    .kernarg_segment_align: 8
    .kernarg_segment_size: 16
    .language:       OpenCL C
    .language_version:
      - 2
      - 0
    .max_flat_workgroup_size: 256
    .name:           _ZN9rocsparseL16conjugate_kernelILj256Ei21rocsparse_complex_numIdEEEvT0_PT1_
    .private_segment_fixed_size: 0
    .sgpr_count:     11
    .sgpr_spill_count: 0
    .symbol:         _ZN9rocsparseL16conjugate_kernelILj256Ei21rocsparse_complex_numIdEEEvT0_PT1_.kd
    .uniform_work_group_size: 1
    .uses_dynamic_stack: false
    .vgpr_count:     4
    .vgpr_spill_count: 0
    .wavefront_size: 64
  - .args:
      - .offset:         0
        .size:           8
        .value_kind:     by_value
      - .address_space:  global
        .offset:         8
        .size:           8
        .value_kind:     global_buffer
    .group_segment_fixed_size: 0
    .kernarg_segment_align: 8
    .kernarg_segment_size: 16
    .language:       OpenCL C
    .language_version:
      - 2
      - 0
    .max_flat_workgroup_size: 256
    .name:           _ZN9rocsparseL16conjugate_kernelILj256ElfEEvT0_PT1_
    .private_segment_fixed_size: 0
    .sgpr_count:     4
    .sgpr_spill_count: 0
    .symbol:         _ZN9rocsparseL16conjugate_kernelILj256ElfEEvT0_PT1_.kd
    .uniform_work_group_size: 1
    .uses_dynamic_stack: false
    .vgpr_count:     0
    .vgpr_spill_count: 0
    .wavefront_size: 64
  - .args:
      - .offset:         0
        .size:           8
        .value_kind:     by_value
      - .address_space:  global
        .offset:         8
        .size:           8
        .value_kind:     global_buffer
    .group_segment_fixed_size: 0
    .kernarg_segment_align: 8
    .kernarg_segment_size: 16
    .language:       OpenCL C
    .language_version:
      - 2
      - 0
    .max_flat_workgroup_size: 256
    .name:           _ZN9rocsparseL16conjugate_kernelILj256EldEEvT0_PT1_
    .private_segment_fixed_size: 0
    .sgpr_count:     4
    .sgpr_spill_count: 0
    .symbol:         _ZN9rocsparseL16conjugate_kernelILj256EldEEvT0_PT1_.kd
    .uniform_work_group_size: 1
    .uses_dynamic_stack: false
    .vgpr_count:     0
    .vgpr_spill_count: 0
    .wavefront_size: 64
  - .args:
      - .offset:         0
        .size:           8
        .value_kind:     by_value
      - .address_space:  global
        .offset:         8
        .size:           8
        .value_kind:     global_buffer
    .group_segment_fixed_size: 0
    .kernarg_segment_align: 8
    .kernarg_segment_size: 16
    .language:       OpenCL C
    .language_version:
      - 2
      - 0
    .max_flat_workgroup_size: 256
    .name:           _ZN9rocsparseL16conjugate_kernelILj256El21rocsparse_complex_numIfEEEvT0_PT1_
    .private_segment_fixed_size: 0
    .sgpr_count:     11
    .sgpr_spill_count: 0
    .symbol:         _ZN9rocsparseL16conjugate_kernelILj256El21rocsparse_complex_numIfEEEvT0_PT1_.kd
    .uniform_work_group_size: 1
    .uses_dynamic_stack: false
    .vgpr_count:     3
    .vgpr_spill_count: 0
    .wavefront_size: 64
  - .args:
      - .offset:         0
        .size:           8
        .value_kind:     by_value
      - .address_space:  global
        .offset:         8
        .size:           8
        .value_kind:     global_buffer
    .group_segment_fixed_size: 0
    .kernarg_segment_align: 8
    .kernarg_segment_size: 16
    .language:       OpenCL C
    .language_version:
      - 2
      - 0
    .max_flat_workgroup_size: 256
    .name:           _ZN9rocsparseL16conjugate_kernelILj256El21rocsparse_complex_numIdEEEvT0_PT1_
    .private_segment_fixed_size: 0
    .sgpr_count:     11
    .sgpr_spill_count: 0
    .symbol:         _ZN9rocsparseL16conjugate_kernelILj256El21rocsparse_complex_numIdEEEvT0_PT1_.kd
    .uniform_work_group_size: 1
    .uses_dynamic_stack: false
    .vgpr_count:     4
    .vgpr_spill_count: 0
    .wavefront_size: 64
  - .args:
      - .offset:         0
        .size:           4
        .value_kind:     by_value
      - .offset:         4
        .size:           4
        .value_kind:     by_value
      - .address_space:  global
        .offset:         8
        .size:           8
        .value_kind:     global_buffer
    .group_segment_fixed_size: 0
    .kernarg_segment_align: 8
    .kernarg_segment_size: 16
    .language:       OpenCL C
    .language_version:
      - 2
      - 0
    .max_flat_workgroup_size: 256
    .name:           _ZN9rocsparseL13valset_kernelILj256EiiEEvT0_T1_PS2_
    .private_segment_fixed_size: 0
    .sgpr_count:     11
    .sgpr_spill_count: 0
    .symbol:         _ZN9rocsparseL13valset_kernelILj256EiiEEvT0_T1_PS2_.kd
    .uniform_work_group_size: 1
    .uses_dynamic_stack: false
    .vgpr_count:     3
    .vgpr_spill_count: 0
    .wavefront_size: 64
  - .args:
      - .offset:         0
        .size:           4
        .value_kind:     by_value
      - .offset:         8
        .size:           8
        .value_kind:     by_value
      - .address_space:  global
        .offset:         16
        .size:           8
        .value_kind:     global_buffer
    .group_segment_fixed_size: 0
    .kernarg_segment_align: 8
    .kernarg_segment_size: 24
    .language:       OpenCL C
    .language_version:
      - 2
      - 0
    .max_flat_workgroup_size: 256
    .name:           _ZN9rocsparseL13valset_kernelILj256EilEEvT0_T1_PS2_
    .private_segment_fixed_size: 0
    .sgpr_count:     11
    .sgpr_spill_count: 0
    .symbol:         _ZN9rocsparseL13valset_kernelILj256EilEEvT0_T1_PS2_.kd
    .uniform_work_group_size: 1
    .uses_dynamic_stack: false
    .vgpr_count:     5
    .vgpr_spill_count: 0
    .wavefront_size: 64
  - .args:
      - .offset:         0
        .size:           8
        .value_kind:     by_value
      - .offset:         8
        .size:           4
        .value_kind:     by_value
      - .address_space:  global
        .offset:         16
        .size:           8
        .value_kind:     global_buffer
    .group_segment_fixed_size: 0
    .kernarg_segment_align: 8
    .kernarg_segment_size: 24
    .language:       OpenCL C
    .language_version:
      - 2
      - 0
    .max_flat_workgroup_size: 256
    .name:           _ZN9rocsparseL13valset_kernelILj256EliEEvT0_T1_PS2_
    .private_segment_fixed_size: 0
    .sgpr_count:     11
    .sgpr_spill_count: 0
    .symbol:         _ZN9rocsparseL13valset_kernelILj256EliEEvT0_T1_PS2_.kd
    .uniform_work_group_size: 1
    .uses_dynamic_stack: false
    .vgpr_count:     3
    .vgpr_spill_count: 0
    .wavefront_size: 64
  - .args:
      - .offset:         0
        .size:           8
        .value_kind:     by_value
      - .offset:         8
        .size:           8
        .value_kind:     by_value
      - .address_space:  global
        .offset:         16
        .size:           8
        .value_kind:     global_buffer
    .group_segment_fixed_size: 0
    .kernarg_segment_align: 8
    .kernarg_segment_size: 24
    .language:       OpenCL C
    .language_version:
      - 2
      - 0
    .max_flat_workgroup_size: 256
    .name:           _ZN9rocsparseL13valset_kernelILj256EllEEvT0_T1_PS2_
    .private_segment_fixed_size: 0
    .sgpr_count:     11
    .sgpr_spill_count: 0
    .symbol:         _ZN9rocsparseL13valset_kernelILj256EllEEvT0_T1_PS2_.kd
    .uniform_work_group_size: 1
    .uses_dynamic_stack: false
    .vgpr_count:     5
    .vgpr_spill_count: 0
    .wavefront_size: 64
  - .args:
      - .offset:         0
        .size:           4
        .value_kind:     by_value
      - .offset:         4
        .size:           4
        .value_kind:     by_value
      - .offset:         8
        .size:           8
        .value_kind:     by_value
      - .offset:         16
        .size:           2
        .value_kind:     by_value
      - .address_space:  global
        .offset:         24
        .size:           8
        .value_kind:     global_buffer
      - .offset:         32
        .size:           4
        .value_kind:     by_value
    .group_segment_fixed_size: 0
    .kernarg_segment_align: 8
    .kernarg_segment_size: 36
    .language:       OpenCL C
    .language_version:
      - 2
      - 0
    .max_flat_workgroup_size: 256
    .name:           _ZN9rocsparseL16valset_2d_kernelILj256EiDF16_EEvT0_S1_lT1_PS2_16rocsparse_order_
    .private_segment_fixed_size: 0
    .sgpr_count:     13
    .sgpr_spill_count: 0
    .symbol:         _ZN9rocsparseL16valset_2d_kernelILj256EiDF16_EEvT0_S1_lT1_PS2_16rocsparse_order_.kd
    .uniform_work_group_size: 1
    .uses_dynamic_stack: false
    .vgpr_count:     8
    .vgpr_spill_count: 0
    .wavefront_size: 64
  - .args:
      - .offset:         0
        .size:           4
        .value_kind:     by_value
      - .offset:         4
        .size:           4
        .value_kind:     by_value
      - .offset:         8
        .size:           8
        .value_kind:     by_value
      - .offset:         16
        .size:           2
        .value_kind:     by_value
      - .address_space:  global
        .offset:         24
        .size:           8
        .value_kind:     global_buffer
      - .offset:         32
        .size:           4
        .value_kind:     by_value
    .group_segment_fixed_size: 0
    .kernarg_segment_align: 8
    .kernarg_segment_size: 36
    .language:       OpenCL C
    .language_version:
      - 2
      - 0
    .max_flat_workgroup_size: 256
    .name:           _ZN9rocsparseL16valset_2d_kernelILj256Ei18rocsparse_bfloat16EEvT0_S2_lT1_PS3_16rocsparse_order_
    .private_segment_fixed_size: 0
    .sgpr_count:     13
    .sgpr_spill_count: 0
    .symbol:         _ZN9rocsparseL16valset_2d_kernelILj256Ei18rocsparse_bfloat16EEvT0_S2_lT1_PS3_16rocsparse_order_.kd
    .uniform_work_group_size: 1
    .uses_dynamic_stack: false
    .vgpr_count:     8
    .vgpr_spill_count: 0
    .wavefront_size: 64
  - .args:
      - .offset:         0
        .size:           4
        .value_kind:     by_value
      - .offset:         4
        .size:           4
        .value_kind:     by_value
      - .offset:         8
        .size:           8
        .value_kind:     by_value
      - .offset:         16
        .size:           4
        .value_kind:     by_value
      - .address_space:  global
        .offset:         24
        .size:           8
        .value_kind:     global_buffer
      - .offset:         32
        .size:           4
        .value_kind:     by_value
    .group_segment_fixed_size: 0
    .kernarg_segment_align: 8
    .kernarg_segment_size: 36
    .language:       OpenCL C
    .language_version:
      - 2
      - 0
    .max_flat_workgroup_size: 256
    .name:           _ZN9rocsparseL16valset_2d_kernelILj256EifEEvT0_S1_lT1_PS2_16rocsparse_order_
    .private_segment_fixed_size: 0
    .sgpr_count:     13
    .sgpr_spill_count: 0
    .symbol:         _ZN9rocsparseL16valset_2d_kernelILj256EifEEvT0_S1_lT1_PS2_16rocsparse_order_.kd
    .uniform_work_group_size: 1
    .uses_dynamic_stack: false
    .vgpr_count:     8
    .vgpr_spill_count: 0
    .wavefront_size: 64
  - .args:
      - .offset:         0
        .size:           4
        .value_kind:     by_value
      - .offset:         4
        .size:           4
        .value_kind:     by_value
      - .offset:         8
        .size:           8
        .value_kind:     by_value
      - .offset:         16
        .size:           8
        .value_kind:     by_value
      - .address_space:  global
        .offset:         24
        .size:           8
        .value_kind:     global_buffer
      - .offset:         32
        .size:           4
        .value_kind:     by_value
    .group_segment_fixed_size: 0
    .kernarg_segment_align: 8
    .kernarg_segment_size: 36
    .language:       OpenCL C
    .language_version:
      - 2
      - 0
    .max_flat_workgroup_size: 256
    .name:           _ZN9rocsparseL16valset_2d_kernelILj256EidEEvT0_S1_lT1_PS2_16rocsparse_order_
    .private_segment_fixed_size: 0
    .sgpr_count:     12
    .sgpr_spill_count: 0
    .symbol:         _ZN9rocsparseL16valset_2d_kernelILj256EidEEvT0_S1_lT1_PS2_16rocsparse_order_.kd
    .uniform_work_group_size: 1
    .uses_dynamic_stack: false
    .vgpr_count:     10
    .vgpr_spill_count: 0
    .wavefront_size: 64
  - .args:
      - .offset:         0
        .size:           4
        .value_kind:     by_value
      - .offset:         4
        .size:           4
        .value_kind:     by_value
      - .offset:         8
        .size:           8
        .value_kind:     by_value
      - .offset:         16
        .size:           8
        .value_kind:     by_value
      - .address_space:  global
        .offset:         24
        .size:           8
        .value_kind:     global_buffer
      - .offset:         32
        .size:           4
        .value_kind:     by_value
    .group_segment_fixed_size: 0
    .kernarg_segment_align: 8
    .kernarg_segment_size: 36
    .language:       OpenCL C
    .language_version:
      - 2
      - 0
    .max_flat_workgroup_size: 256
    .name:           _ZN9rocsparseL16valset_2d_kernelILj256Ei21rocsparse_complex_numIfEEEvT0_S3_lT1_PS4_16rocsparse_order_
    .private_segment_fixed_size: 0
    .sgpr_count:     14
    .sgpr_spill_count: 0
    .symbol:         _ZN9rocsparseL16valset_2d_kernelILj256Ei21rocsparse_complex_numIfEEEvT0_S3_lT1_PS4_16rocsparse_order_.kd
    .uniform_work_group_size: 1
    .uses_dynamic_stack: false
    .vgpr_count:     8
    .vgpr_spill_count: 0
    .wavefront_size: 64
  - .args:
      - .offset:         0
        .size:           4
        .value_kind:     by_value
      - .offset:         4
        .size:           4
        .value_kind:     by_value
      - .offset:         8
        .size:           8
        .value_kind:     by_value
      - .offset:         16
        .size:           16
        .value_kind:     by_value
      - .address_space:  global
        .offset:         32
        .size:           8
        .value_kind:     global_buffer
      - .offset:         40
        .size:           4
        .value_kind:     by_value
    .group_segment_fixed_size: 0
    .kernarg_segment_align: 8
    .kernarg_segment_size: 44
    .language:       OpenCL C
    .language_version:
      - 2
      - 0
    .max_flat_workgroup_size: 256
    .name:           _ZN9rocsparseL16valset_2d_kernelILj256Ei21rocsparse_complex_numIdEEEvT0_S3_lT1_PS4_16rocsparse_order_
    .private_segment_fixed_size: 0
    .sgpr_count:     16
    .sgpr_spill_count: 0
    .symbol:         _ZN9rocsparseL16valset_2d_kernelILj256Ei21rocsparse_complex_numIdEEEvT0_S3_lT1_PS4_16rocsparse_order_.kd
    .uniform_work_group_size: 1
    .uses_dynamic_stack: false
    .vgpr_count:     8
    .vgpr_spill_count: 0
    .wavefront_size: 64
  - .args:
      - .offset:         0
        .size:           8
        .value_kind:     by_value
      - .offset:         8
        .size:           8
        .value_kind:     by_value
      - .offset:         16
        .size:           8
        .value_kind:     by_value
      - .offset:         24
        .size:           2
        .value_kind:     by_value
      - .address_space:  global
        .offset:         32
        .size:           8
        .value_kind:     global_buffer
      - .offset:         40
        .size:           4
        .value_kind:     by_value
    .group_segment_fixed_size: 0
    .kernarg_segment_align: 8
    .kernarg_segment_size: 44
    .language:       OpenCL C
    .language_version:
      - 2
      - 0
    .max_flat_workgroup_size: 256
    .name:           _ZN9rocsparseL16valset_2d_kernelILj256ElDF16_EEvT0_S1_lT1_PS2_16rocsparse_order_
    .private_segment_fixed_size: 0
    .sgpr_count:     23
    .sgpr_spill_count: 0
    .symbol:         _ZN9rocsparseL16valset_2d_kernelILj256ElDF16_EEvT0_S1_lT1_PS2_16rocsparse_order_.kd
    .uniform_work_group_size: 1
    .uses_dynamic_stack: false
    .vgpr_count:     11
    .vgpr_spill_count: 0
    .wavefront_size: 64
  - .args:
      - .offset:         0
        .size:           8
        .value_kind:     by_value
      - .offset:         8
        .size:           8
        .value_kind:     by_value
      - .offset:         16
        .size:           8
        .value_kind:     by_value
      - .offset:         24
        .size:           2
        .value_kind:     by_value
      - .address_space:  global
        .offset:         32
        .size:           8
        .value_kind:     global_buffer
      - .offset:         40
        .size:           4
        .value_kind:     by_value
    .group_segment_fixed_size: 0
    .kernarg_segment_align: 8
    .kernarg_segment_size: 44
    .language:       OpenCL C
    .language_version:
      - 2
      - 0
    .max_flat_workgroup_size: 256
    .name:           _ZN9rocsparseL16valset_2d_kernelILj256El18rocsparse_bfloat16EEvT0_S2_lT1_PS3_16rocsparse_order_
    .private_segment_fixed_size: 0
    .sgpr_count:     23
    .sgpr_spill_count: 0
    .symbol:         _ZN9rocsparseL16valset_2d_kernelILj256El18rocsparse_bfloat16EEvT0_S2_lT1_PS3_16rocsparse_order_.kd
    .uniform_work_group_size: 1
    .uses_dynamic_stack: false
    .vgpr_count:     11
    .vgpr_spill_count: 0
    .wavefront_size: 64
  - .args:
      - .offset:         0
        .size:           8
        .value_kind:     by_value
      - .offset:         8
        .size:           8
        .value_kind:     by_value
      - .offset:         16
        .size:           8
        .value_kind:     by_value
      - .offset:         24
        .size:           4
        .value_kind:     by_value
      - .address_space:  global
        .offset:         32
        .size:           8
        .value_kind:     global_buffer
      - .offset:         40
        .size:           4
        .value_kind:     by_value
    .group_segment_fixed_size: 0
    .kernarg_segment_align: 8
    .kernarg_segment_size: 44
    .language:       OpenCL C
    .language_version:
      - 2
      - 0
    .max_flat_workgroup_size: 256
    .name:           _ZN9rocsparseL16valset_2d_kernelILj256ElfEEvT0_S1_lT1_PS2_16rocsparse_order_
    .private_segment_fixed_size: 0
    .sgpr_count:     23
    .sgpr_spill_count: 0
    .symbol:         _ZN9rocsparseL16valset_2d_kernelILj256ElfEEvT0_S1_lT1_PS2_16rocsparse_order_.kd
    .uniform_work_group_size: 1
    .uses_dynamic_stack: false
    .vgpr_count:     11
    .vgpr_spill_count: 0
    .wavefront_size: 64
  - .args:
      - .offset:         0
        .size:           8
        .value_kind:     by_value
      - .offset:         8
        .size:           8
        .value_kind:     by_value
      - .offset:         16
        .size:           8
        .value_kind:     by_value
      - .offset:         24
        .size:           8
        .value_kind:     by_value
      - .address_space:  global
        .offset:         32
        .size:           8
        .value_kind:     global_buffer
      - .offset:         40
        .size:           4
        .value_kind:     by_value
    .group_segment_fixed_size: 0
    .kernarg_segment_align: 8
    .kernarg_segment_size: 44
    .language:       OpenCL C
    .language_version:
      - 2
      - 0
    .max_flat_workgroup_size: 256
    .name:           _ZN9rocsparseL16valset_2d_kernelILj256EldEEvT0_S1_lT1_PS2_16rocsparse_order_
    .private_segment_fixed_size: 0
    .sgpr_count:     25
    .sgpr_spill_count: 0
    .symbol:         _ZN9rocsparseL16valset_2d_kernelILj256EldEEvT0_S1_lT1_PS2_16rocsparse_order_.kd
    .uniform_work_group_size: 1
    .uses_dynamic_stack: false
    .vgpr_count:     11
    .vgpr_spill_count: 0
    .wavefront_size: 64
  - .args:
      - .offset:         0
        .size:           8
        .value_kind:     by_value
      - .offset:         8
        .size:           8
        .value_kind:     by_value
      - .offset:         16
        .size:           8
        .value_kind:     by_value
      - .offset:         24
        .size:           8
        .value_kind:     by_value
      - .address_space:  global
        .offset:         32
        .size:           8
        .value_kind:     global_buffer
      - .offset:         40
        .size:           4
        .value_kind:     by_value
    .group_segment_fixed_size: 0
    .kernarg_segment_align: 8
    .kernarg_segment_size: 44
    .language:       OpenCL C
    .language_version:
      - 2
      - 0
    .max_flat_workgroup_size: 256
    .name:           _ZN9rocsparseL16valset_2d_kernelILj256El21rocsparse_complex_numIfEEEvT0_S3_lT1_PS4_16rocsparse_order_
    .private_segment_fixed_size: 0
    .sgpr_count:     25
    .sgpr_spill_count: 0
    .symbol:         _ZN9rocsparseL16valset_2d_kernelILj256El21rocsparse_complex_numIfEEEvT0_S3_lT1_PS4_16rocsparse_order_.kd
    .uniform_work_group_size: 1
    .uses_dynamic_stack: false
    .vgpr_count:     11
    .vgpr_spill_count: 0
    .wavefront_size: 64
  - .args:
      - .offset:         0
        .size:           8
        .value_kind:     by_value
      - .offset:         8
        .size:           8
        .value_kind:     by_value
      - .offset:         16
        .size:           8
        .value_kind:     by_value
      - .offset:         24
        .size:           16
        .value_kind:     by_value
      - .address_space:  global
        .offset:         40
        .size:           8
        .value_kind:     global_buffer
      - .offset:         48
        .size:           4
        .value_kind:     by_value
    .group_segment_fixed_size: 0
    .kernarg_segment_align: 8
    .kernarg_segment_size: 52
    .language:       OpenCL C
    .language_version:
      - 2
      - 0
    .max_flat_workgroup_size: 256
    .name:           _ZN9rocsparseL16valset_2d_kernelILj256El21rocsparse_complex_numIdEEEvT0_S3_lT1_PS4_16rocsparse_order_
    .private_segment_fixed_size: 0
    .sgpr_count:     23
    .sgpr_spill_count: 0
    .symbol:         _ZN9rocsparseL16valset_2d_kernelILj256El21rocsparse_complex_numIdEEEvT0_S3_lT1_PS4_16rocsparse_order_.kd
    .uniform_work_group_size: 1
    .uses_dynamic_stack: false
    .vgpr_count:     11
    .vgpr_spill_count: 0
    .wavefront_size: 64
  - .args:
      - .offset:         0
        .size:           4
        .value_kind:     by_value
      - .offset:         8
        .size:           8
        .value_kind:     by_value
      - .actual_access:  write_only
        .address_space:  global
        .offset:         16
        .size:           8
        .value_kind:     global_buffer
      - .offset:         24
        .size:           1
        .value_kind:     by_value
    .group_segment_fixed_size: 0
    .kernarg_segment_align: 8
    .kernarg_segment_size: 28
    .language:       OpenCL C
    .language_version:
      - 2
      - 0
    .max_flat_workgroup_size: 256
    .name:           _ZN9rocsparseL12scale_kernelILj256Ei18rocsparse_bfloat16fEEvT0_NS_24const_host_device_scalarIT2_EEPT1_b
    .private_segment_fixed_size: 0
    .sgpr_count:     11
    .sgpr_spill_count: 0
    .symbol:         _ZN9rocsparseL12scale_kernelILj256Ei18rocsparse_bfloat16fEEvT0_NS_24const_host_device_scalarIT2_EEPT1_b.kd
    .uniform_work_group_size: 1
    .uses_dynamic_stack: false
    .vgpr_count:     3
    .vgpr_spill_count: 0
    .wavefront_size: 64
  - .args:
      - .offset:         0
        .size:           4
        .value_kind:     by_value
      - .offset:         8
        .size:           8
        .value_kind:     by_value
      - .address_space:  global
        .offset:         16
        .size:           8
        .value_kind:     global_buffer
      - .offset:         24
        .size:           1
        .value_kind:     by_value
    .group_segment_fixed_size: 0
    .kernarg_segment_align: 8
    .kernarg_segment_size: 28
    .language:       OpenCL C
    .language_version:
      - 2
      - 0
    .max_flat_workgroup_size: 256
    .name:           _ZN9rocsparseL12scale_kernelILj256EiDF16_fEEvT0_NS_24const_host_device_scalarIT2_EEPT1_b
    .private_segment_fixed_size: 0
    .sgpr_count:     11
    .sgpr_spill_count: 0
    .symbol:         _ZN9rocsparseL12scale_kernelILj256EiDF16_fEEvT0_NS_24const_host_device_scalarIT2_EEPT1_b.kd
    .uniform_work_group_size: 1
    .uses_dynamic_stack: false
    .vgpr_count:     3
    .vgpr_spill_count: 0
    .wavefront_size: 64
  - .args:
      - .offset:         0
        .size:           4
        .value_kind:     by_value
      - .offset:         8
        .size:           8
        .value_kind:     by_value
      - .address_space:  global
        .offset:         16
        .size:           8
        .value_kind:     global_buffer
      - .offset:         24
        .size:           1
        .value_kind:     by_value
    .group_segment_fixed_size: 0
    .kernarg_segment_align: 8
    .kernarg_segment_size: 28
    .language:       OpenCL C
    .language_version:
      - 2
      - 0
    .max_flat_workgroup_size: 256
    .name:           _ZN9rocsparseL12scale_kernelILj256EiiiEEvT0_NS_24const_host_device_scalarIT2_EEPT1_b
    .private_segment_fixed_size: 0
    .sgpr_count:     11
    .sgpr_spill_count: 0
    .symbol:         _ZN9rocsparseL12scale_kernelILj256EiiiEEvT0_NS_24const_host_device_scalarIT2_EEPT1_b.kd
    .uniform_work_group_size: 1
    .uses_dynamic_stack: false
    .vgpr_count:     3
    .vgpr_spill_count: 0
    .wavefront_size: 64
  - .args:
      - .offset:         0
        .size:           4
        .value_kind:     by_value
      - .offset:         8
        .size:           8
        .value_kind:     by_value
      - .address_space:  global
        .offset:         16
        .size:           8
        .value_kind:     global_buffer
      - .offset:         24
        .size:           1
        .value_kind:     by_value
    .group_segment_fixed_size: 0
    .kernarg_segment_align: 8
    .kernarg_segment_size: 28
    .language:       OpenCL C
    .language_version:
      - 2
      - 0
    .max_flat_workgroup_size: 256
    .name:           _ZN9rocsparseL12scale_kernelILj256EiffEEvT0_NS_24const_host_device_scalarIT2_EEPT1_b
    .private_segment_fixed_size: 0
    .sgpr_count:     11
    .sgpr_spill_count: 0
    .symbol:         _ZN9rocsparseL12scale_kernelILj256EiffEEvT0_NS_24const_host_device_scalarIT2_EEPT1_b.kd
    .uniform_work_group_size: 1
    .uses_dynamic_stack: false
    .vgpr_count:     4
    .vgpr_spill_count: 0
    .wavefront_size: 64
  - .args:
      - .offset:         0
        .size:           4
        .value_kind:     by_value
      - .offset:         8
        .size:           8
        .value_kind:     by_value
      - .address_space:  global
        .offset:         16
        .size:           8
        .value_kind:     global_buffer
      - .offset:         24
        .size:           1
        .value_kind:     by_value
    .group_segment_fixed_size: 0
    .kernarg_segment_align: 8
    .kernarg_segment_size: 28
    .language:       OpenCL C
    .language_version:
      - 2
      - 0
    .max_flat_workgroup_size: 256
    .name:           _ZN9rocsparseL12scale_kernelILj256EiddEEvT0_NS_24const_host_device_scalarIT2_EEPT1_b
    .private_segment_fixed_size: 0
    .sgpr_count:     11
    .sgpr_spill_count: 0
    .symbol:         _ZN9rocsparseL12scale_kernelILj256EiddEEvT0_NS_24const_host_device_scalarIT2_EEPT1_b.kd
    .uniform_work_group_size: 1
    .uses_dynamic_stack: false
    .vgpr_count:     7
    .vgpr_spill_count: 0
    .wavefront_size: 64
  - .args:
      - .offset:         0
        .size:           4
        .value_kind:     by_value
      - .offset:         8
        .size:           8
        .value_kind:     by_value
      - .address_space:  global
        .offset:         16
        .size:           8
        .value_kind:     global_buffer
      - .offset:         24
        .size:           1
        .value_kind:     by_value
    .group_segment_fixed_size: 0
    .kernarg_segment_align: 8
    .kernarg_segment_size: 28
    .language:       OpenCL C
    .language_version:
      - 2
      - 0
    .max_flat_workgroup_size: 256
    .name:           _ZN9rocsparseL12scale_kernelILj256Ei21rocsparse_complex_numIfES2_EEvT0_NS_24const_host_device_scalarIT2_EEPT1_b
    .private_segment_fixed_size: 0
    .sgpr_count:     12
    .sgpr_spill_count: 0
    .symbol:         _ZN9rocsparseL12scale_kernelILj256Ei21rocsparse_complex_numIfES2_EEvT0_NS_24const_host_device_scalarIT2_EEPT1_b.kd
    .uniform_work_group_size: 1
    .uses_dynamic_stack: false
    .vgpr_count:     9
    .vgpr_spill_count: 0
    .wavefront_size: 64
  - .args:
      - .offset:         0
        .size:           4
        .value_kind:     by_value
      - .offset:         8
        .size:           16
        .value_kind:     by_value
      - .address_space:  global
        .offset:         24
        .size:           8
        .value_kind:     global_buffer
      - .offset:         32
        .size:           1
        .value_kind:     by_value
    .group_segment_fixed_size: 0
    .kernarg_segment_align: 8
    .kernarg_segment_size: 36
    .language:       OpenCL C
    .language_version:
      - 2
      - 0
    .max_flat_workgroup_size: 256
    .name:           _ZN9rocsparseL12scale_kernelILj256Ei21rocsparse_complex_numIdES2_EEvT0_NS_24const_host_device_scalarIT2_EEPT1_b
    .private_segment_fixed_size: 0
    .sgpr_count:     12
    .sgpr_spill_count: 0
    .symbol:         _ZN9rocsparseL12scale_kernelILj256Ei21rocsparse_complex_numIdES2_EEvT0_NS_24const_host_device_scalarIT2_EEPT1_b.kd
    .uniform_work_group_size: 1
    .uses_dynamic_stack: false
    .vgpr_count:     13
    .vgpr_spill_count: 0
    .wavefront_size: 64
  - .args:
      - .offset:         0
        .size:           8
        .value_kind:     by_value
      - .offset:         8
        .size:           8
        .value_kind:     by_value
      - .actual_access:  write_only
        .address_space:  global
        .offset:         16
        .size:           8
        .value_kind:     global_buffer
      - .offset:         24
        .size:           1
        .value_kind:     by_value
    .group_segment_fixed_size: 0
    .kernarg_segment_align: 8
    .kernarg_segment_size: 28
    .language:       OpenCL C
    .language_version:
      - 2
      - 0
    .max_flat_workgroup_size: 256
    .name:           _ZN9rocsparseL12scale_kernelILj256El18rocsparse_bfloat16fEEvT0_NS_24const_host_device_scalarIT2_EEPT1_b
    .private_segment_fixed_size: 0
    .sgpr_count:     14
    .sgpr_spill_count: 0
    .symbol:         _ZN9rocsparseL12scale_kernelILj256El18rocsparse_bfloat16fEEvT0_NS_24const_host_device_scalarIT2_EEPT1_b.kd
    .uniform_work_group_size: 1
    .uses_dynamic_stack: false
    .vgpr_count:     4
    .vgpr_spill_count: 0
    .wavefront_size: 64
  - .args:
      - .offset:         0
        .size:           8
        .value_kind:     by_value
      - .offset:         8
        .size:           8
        .value_kind:     by_value
      - .address_space:  global
        .offset:         16
        .size:           8
        .value_kind:     global_buffer
      - .offset:         24
        .size:           1
        .value_kind:     by_value
    .group_segment_fixed_size: 0
    .kernarg_segment_align: 8
    .kernarg_segment_size: 28
    .language:       OpenCL C
    .language_version:
      - 2
      - 0
    .max_flat_workgroup_size: 256
    .name:           _ZN9rocsparseL12scale_kernelILj256ElDF16_fEEvT0_NS_24const_host_device_scalarIT2_EEPT1_b
    .private_segment_fixed_size: 0
    .sgpr_count:     14
    .sgpr_spill_count: 0
    .symbol:         _ZN9rocsparseL12scale_kernelILj256ElDF16_fEEvT0_NS_24const_host_device_scalarIT2_EEPT1_b.kd
    .uniform_work_group_size: 1
    .uses_dynamic_stack: false
    .vgpr_count:     4
    .vgpr_spill_count: 0
    .wavefront_size: 64
  - .args:
      - .offset:         0
        .size:           8
        .value_kind:     by_value
      - .offset:         8
        .size:           8
        .value_kind:     by_value
      - .address_space:  global
        .offset:         16
        .size:           8
        .value_kind:     global_buffer
      - .offset:         24
        .size:           1
        .value_kind:     by_value
    .group_segment_fixed_size: 0
    .kernarg_segment_align: 8
    .kernarg_segment_size: 28
    .language:       OpenCL C
    .language_version:
      - 2
      - 0
    .max_flat_workgroup_size: 256
    .name:           _ZN9rocsparseL12scale_kernelILj256EliiEEvT0_NS_24const_host_device_scalarIT2_EEPT1_b
    .private_segment_fixed_size: 0
    .sgpr_count:     12
    .sgpr_spill_count: 0
    .symbol:         _ZN9rocsparseL12scale_kernelILj256EliiEEvT0_NS_24const_host_device_scalarIT2_EEPT1_b.kd
    .uniform_work_group_size: 1
    .uses_dynamic_stack: false
    .vgpr_count:     3
    .vgpr_spill_count: 0
    .wavefront_size: 64
  - .args:
      - .offset:         0
        .size:           8
        .value_kind:     by_value
      - .offset:         8
        .size:           8
        .value_kind:     by_value
      - .address_space:  global
        .offset:         16
        .size:           8
        .value_kind:     global_buffer
      - .offset:         24
        .size:           1
        .value_kind:     by_value
    .group_segment_fixed_size: 0
    .kernarg_segment_align: 8
    .kernarg_segment_size: 28
    .language:       OpenCL C
    .language_version:
      - 2
      - 0
    .max_flat_workgroup_size: 256
    .name:           _ZN9rocsparseL12scale_kernelILj256ElffEEvT0_NS_24const_host_device_scalarIT2_EEPT1_b
    .private_segment_fixed_size: 0
    .sgpr_count:     14
    .sgpr_spill_count: 0
    .symbol:         _ZN9rocsparseL12scale_kernelILj256ElffEEvT0_NS_24const_host_device_scalarIT2_EEPT1_b.kd
    .uniform_work_group_size: 1
    .uses_dynamic_stack: false
    .vgpr_count:     4
    .vgpr_spill_count: 0
    .wavefront_size: 64
  - .args:
      - .offset:         0
        .size:           8
        .value_kind:     by_value
      - .offset:         8
        .size:           8
        .value_kind:     by_value
      - .address_space:  global
        .offset:         16
        .size:           8
        .value_kind:     global_buffer
      - .offset:         24
        .size:           1
        .value_kind:     by_value
    .group_segment_fixed_size: 0
    .kernarg_segment_align: 8
    .kernarg_segment_size: 28
    .language:       OpenCL C
    .language_version:
      - 2
      - 0
    .max_flat_workgroup_size: 256
    .name:           _ZN9rocsparseL12scale_kernelILj256ElddEEvT0_NS_24const_host_device_scalarIT2_EEPT1_b
    .private_segment_fixed_size: 0
    .sgpr_count:     14
    .sgpr_spill_count: 0
    .symbol:         _ZN9rocsparseL12scale_kernelILj256ElddEEvT0_NS_24const_host_device_scalarIT2_EEPT1_b.kd
    .uniform_work_group_size: 1
    .uses_dynamic_stack: false
    .vgpr_count:     7
    .vgpr_spill_count: 0
    .wavefront_size: 64
  - .args:
      - .offset:         0
        .size:           8
        .value_kind:     by_value
      - .offset:         8
        .size:           8
        .value_kind:     by_value
      - .address_space:  global
        .offset:         16
        .size:           8
        .value_kind:     global_buffer
      - .offset:         24
        .size:           1
        .value_kind:     by_value
    .group_segment_fixed_size: 0
    .kernarg_segment_align: 8
    .kernarg_segment_size: 28
    .language:       OpenCL C
    .language_version:
      - 2
      - 0
    .max_flat_workgroup_size: 256
    .name:           _ZN9rocsparseL12scale_kernelILj256El21rocsparse_complex_numIfES2_EEvT0_NS_24const_host_device_scalarIT2_EEPT1_b
    .private_segment_fixed_size: 0
    .sgpr_count:     16
    .sgpr_spill_count: 0
    .symbol:         _ZN9rocsparseL12scale_kernelILj256El21rocsparse_complex_numIfES2_EEvT0_NS_24const_host_device_scalarIT2_EEPT1_b.kd
    .uniform_work_group_size: 1
    .uses_dynamic_stack: false
    .vgpr_count:     9
    .vgpr_spill_count: 0
    .wavefront_size: 64
  - .args:
      - .offset:         0
        .size:           8
        .value_kind:     by_value
      - .offset:         8
        .size:           16
        .value_kind:     by_value
      - .address_space:  global
        .offset:         24
        .size:           8
        .value_kind:     global_buffer
      - .offset:         32
        .size:           1
        .value_kind:     by_value
    .group_segment_fixed_size: 0
    .kernarg_segment_align: 8
    .kernarg_segment_size: 36
    .language:       OpenCL C
    .language_version:
      - 2
      - 0
    .max_flat_workgroup_size: 256
    .name:           _ZN9rocsparseL12scale_kernelILj256El21rocsparse_complex_numIdES2_EEvT0_NS_24const_host_device_scalarIT2_EEPT1_b
    .private_segment_fixed_size: 0
    .sgpr_count:     16
    .sgpr_spill_count: 0
    .symbol:         _ZN9rocsparseL12scale_kernelILj256El21rocsparse_complex_numIdES2_EEvT0_NS_24const_host_device_scalarIT2_EEPT1_b.kd
    .uniform_work_group_size: 1
    .uses_dynamic_stack: false
    .vgpr_count:     13
    .vgpr_spill_count: 0
    .wavefront_size: 64
  - .args:
      - .offset:         0
        .size:           4
        .value_kind:     by_value
      - .offset:         4
        .size:           4
        .value_kind:     by_value
      - .offset:         8
        .size:           8
        .value_kind:     by_value
      - .offset:         16
        .size:           8
        .value_kind:     by_value
      - .offset:         24
        .size:           8
        .value_kind:     by_value
      - .address_space:  global
        .offset:         32
        .size:           8
        .value_kind:     global_buffer
      - .offset:         40
        .size:           4
        .value_kind:     by_value
      - .offset:         44
        .size:           1
        .value_kind:     by_value
    .group_segment_fixed_size: 0
    .kernarg_segment_align: 8
    .kernarg_segment_size: 48
    .language:       OpenCL C
    .language_version:
      - 2
      - 0
    .max_flat_workgroup_size: 256
    .name:           _ZN9rocsparseL15scale_2d_kernelILj256EiDF16_EEvT0_S1_llNS_24const_host_device_scalarIT1_EEPS3_16rocsparse_order_b
    .private_segment_fixed_size: 0
    .sgpr_count:     17
    .sgpr_spill_count: 0
    .symbol:         _ZN9rocsparseL15scale_2d_kernelILj256EiDF16_EEvT0_S1_llNS_24const_host_device_scalarIT1_EEPS3_16rocsparse_order_b.kd
    .uniform_work_group_size: 1
    .uses_dynamic_stack: false
    .vgpr_count:     9
    .vgpr_spill_count: 0
    .wavefront_size: 64
  - .args:
      - .offset:         0
        .size:           4
        .value_kind:     by_value
      - .offset:         4
        .size:           4
        .value_kind:     by_value
      - .offset:         8
        .size:           8
        .value_kind:     by_value
      - .offset:         16
        .size:           8
        .value_kind:     by_value
      - .offset:         24
        .size:           8
        .value_kind:     by_value
      - .address_space:  global
        .offset:         32
        .size:           8
        .value_kind:     global_buffer
      - .offset:         40
        .size:           4
        .value_kind:     by_value
      - .offset:         44
        .size:           1
        .value_kind:     by_value
    .group_segment_fixed_size: 0
    .kernarg_segment_align: 8
    .kernarg_segment_size: 48
    .language:       OpenCL C
    .language_version:
      - 2
      - 0
    .max_flat_workgroup_size: 256
    .name:           _ZN9rocsparseL15scale_2d_kernelILj256EiiEEvT0_S1_llNS_24const_host_device_scalarIT1_EEPS3_16rocsparse_order_b
    .private_segment_fixed_size: 0
    .sgpr_count:     16
    .sgpr_spill_count: 0
    .symbol:         _ZN9rocsparseL15scale_2d_kernelILj256EiiEEvT0_S1_llNS_24const_host_device_scalarIT1_EEPS3_16rocsparse_order_b.kd
    .uniform_work_group_size: 1
    .uses_dynamic_stack: false
    .vgpr_count:     7
    .vgpr_spill_count: 0
    .wavefront_size: 64
  - .args:
      - .offset:         0
        .size:           4
        .value_kind:     by_value
      - .offset:         4
        .size:           4
        .value_kind:     by_value
      - .offset:         8
        .size:           8
        .value_kind:     by_value
      - .offset:         16
        .size:           8
        .value_kind:     by_value
      - .offset:         24
        .size:           8
        .value_kind:     by_value
      - .address_space:  global
        .offset:         32
        .size:           8
        .value_kind:     global_buffer
      - .offset:         40
        .size:           4
        .value_kind:     by_value
      - .offset:         44
        .size:           1
        .value_kind:     by_value
    .group_segment_fixed_size: 0
    .kernarg_segment_align: 8
    .kernarg_segment_size: 48
    .language:       OpenCL C
    .language_version:
      - 2
      - 0
    .max_flat_workgroup_size: 256
    .name:           _ZN9rocsparseL15scale_2d_kernelILj256EifEEvT0_S1_llNS_24const_host_device_scalarIT1_EEPS3_16rocsparse_order_b
    .private_segment_fixed_size: 0
    .sgpr_count:     20
    .sgpr_spill_count: 0
    .symbol:         _ZN9rocsparseL15scale_2d_kernelILj256EifEEvT0_S1_llNS_24const_host_device_scalarIT1_EEPS3_16rocsparse_order_b.kd
    .uniform_work_group_size: 1
    .uses_dynamic_stack: false
    .vgpr_count:     8
    .vgpr_spill_count: 0
    .wavefront_size: 64
  - .args:
      - .offset:         0
        .size:           4
        .value_kind:     by_value
      - .offset:         4
        .size:           4
        .value_kind:     by_value
      - .offset:         8
        .size:           8
        .value_kind:     by_value
      - .offset:         16
        .size:           8
        .value_kind:     by_value
      - .offset:         24
        .size:           8
        .value_kind:     by_value
      - .address_space:  global
        .offset:         32
        .size:           8
        .value_kind:     global_buffer
      - .offset:         40
        .size:           4
        .value_kind:     by_value
      - .offset:         44
        .size:           1
        .value_kind:     by_value
    .group_segment_fixed_size: 0
    .kernarg_segment_align: 8
    .kernarg_segment_size: 48
    .language:       OpenCL C
    .language_version:
      - 2
      - 0
    .max_flat_workgroup_size: 256
    .name:           _ZN9rocsparseL15scale_2d_kernelILj256EidEEvT0_S1_llNS_24const_host_device_scalarIT1_EEPS3_16rocsparse_order_b
    .private_segment_fixed_size: 0
    .sgpr_count:     17
    .sgpr_spill_count: 0
    .symbol:         _ZN9rocsparseL15scale_2d_kernelILj256EidEEvT0_S1_llNS_24const_host_device_scalarIT1_EEPS3_16rocsparse_order_b.kd
    .uniform_work_group_size: 1
    .uses_dynamic_stack: false
    .vgpr_count:     11
    .vgpr_spill_count: 0
    .wavefront_size: 64
  - .args:
      - .offset:         0
        .size:           4
        .value_kind:     by_value
      - .offset:         4
        .size:           4
        .value_kind:     by_value
      - .offset:         8
        .size:           8
        .value_kind:     by_value
      - .offset:         16
        .size:           8
        .value_kind:     by_value
      - .offset:         24
        .size:           8
        .value_kind:     by_value
      - .address_space:  global
        .offset:         32
        .size:           8
        .value_kind:     global_buffer
      - .offset:         40
        .size:           4
        .value_kind:     by_value
      - .offset:         44
        .size:           1
        .value_kind:     by_value
    .group_segment_fixed_size: 0
    .kernarg_segment_align: 8
    .kernarg_segment_size: 48
    .language:       OpenCL C
    .language_version:
      - 2
      - 0
    .max_flat_workgroup_size: 256
    .name:           _ZN9rocsparseL15scale_2d_kernelILj256Ei21rocsparse_complex_numIfEEEvT0_S3_llNS_24const_host_device_scalarIT1_EEPS5_16rocsparse_order_b
    .private_segment_fixed_size: 0
    .sgpr_count:     19
    .sgpr_spill_count: 0
    .symbol:         _ZN9rocsparseL15scale_2d_kernelILj256Ei21rocsparse_complex_numIfEEEvT0_S3_llNS_24const_host_device_scalarIT1_EEPS5_16rocsparse_order_b.kd
    .uniform_work_group_size: 1
    .uses_dynamic_stack: false
    .vgpr_count:     9
    .vgpr_spill_count: 0
    .wavefront_size: 64
  - .args:
      - .offset:         0
        .size:           4
        .value_kind:     by_value
      - .offset:         4
        .size:           4
        .value_kind:     by_value
      - .offset:         8
        .size:           8
        .value_kind:     by_value
      - .offset:         16
        .size:           8
        .value_kind:     by_value
      - .offset:         24
        .size:           16
        .value_kind:     by_value
      - .address_space:  global
        .offset:         40
        .size:           8
        .value_kind:     global_buffer
      - .offset:         48
        .size:           4
        .value_kind:     by_value
      - .offset:         52
        .size:           1
        .value_kind:     by_value
    .group_segment_fixed_size: 0
    .kernarg_segment_align: 8
    .kernarg_segment_size: 56
    .language:       OpenCL C
    .language_version:
      - 2
      - 0
    .max_flat_workgroup_size: 256
    .name:           _ZN9rocsparseL15scale_2d_kernelILj256Ei21rocsparse_complex_numIdEEEvT0_S3_llNS_24const_host_device_scalarIT1_EEPS5_16rocsparse_order_b
    .private_segment_fixed_size: 0
    .sgpr_count:     19
    .sgpr_spill_count: 0
    .symbol:         _ZN9rocsparseL15scale_2d_kernelILj256Ei21rocsparse_complex_numIdEEEvT0_S3_llNS_24const_host_device_scalarIT1_EEPS5_16rocsparse_order_b.kd
    .uniform_work_group_size: 1
    .uses_dynamic_stack: false
    .vgpr_count:     13
    .vgpr_spill_count: 0
    .wavefront_size: 64
  - .args:
      - .offset:         0
        .size:           8
        .value_kind:     by_value
      - .offset:         8
        .size:           8
        .value_kind:     by_value
      - .offset:         16
        .size:           8
        .value_kind:     by_value
      - .offset:         24
        .size:           8
        .value_kind:     by_value
      - .offset:         32
        .size:           8
        .value_kind:     by_value
      - .address_space:  global
        .offset:         40
        .size:           8
        .value_kind:     global_buffer
      - .offset:         48
        .size:           4
        .value_kind:     by_value
      - .offset:         52
        .size:           1
        .value_kind:     by_value
    .group_segment_fixed_size: 0
    .kernarg_segment_align: 8
    .kernarg_segment_size: 56
    .language:       OpenCL C
    .language_version:
      - 2
      - 0
    .max_flat_workgroup_size: 256
    .name:           _ZN9rocsparseL15scale_2d_kernelILj256ElDF16_EEvT0_S1_llNS_24const_host_device_scalarIT1_EEPS3_16rocsparse_order_b
    .private_segment_fixed_size: 0
    .sgpr_count:     26
    .sgpr_spill_count: 0
    .symbol:         _ZN9rocsparseL15scale_2d_kernelILj256ElDF16_EEvT0_S1_llNS_24const_host_device_scalarIT1_EEPS3_16rocsparse_order_b.kd
    .uniform_work_group_size: 1
    .uses_dynamic_stack: false
    .vgpr_count:     12
    .vgpr_spill_count: 0
    .wavefront_size: 64
  - .args:
      - .offset:         0
        .size:           8
        .value_kind:     by_value
      - .offset:         8
        .size:           8
        .value_kind:     by_value
      - .offset:         16
        .size:           8
        .value_kind:     by_value
      - .offset:         24
        .size:           8
        .value_kind:     by_value
      - .offset:         32
        .size:           8
        .value_kind:     by_value
      - .address_space:  global
        .offset:         40
        .size:           8
        .value_kind:     global_buffer
      - .offset:         48
        .size:           4
        .value_kind:     by_value
      - .offset:         52
        .size:           1
        .value_kind:     by_value
    .group_segment_fixed_size: 0
    .kernarg_segment_align: 8
    .kernarg_segment_size: 56
    .language:       OpenCL C
    .language_version:
      - 2
      - 0
    .max_flat_workgroup_size: 256
    .name:           _ZN9rocsparseL15scale_2d_kernelILj256EliEEvT0_S1_llNS_24const_host_device_scalarIT1_EEPS3_16rocsparse_order_b
    .private_segment_fixed_size: 0
    .sgpr_count:     27
    .sgpr_spill_count: 0
    .symbol:         _ZN9rocsparseL15scale_2d_kernelILj256EliEEvT0_S1_llNS_24const_host_device_scalarIT1_EEPS3_16rocsparse_order_b.kd
    .uniform_work_group_size: 1
    .uses_dynamic_stack: false
    .vgpr_count:     11
    .vgpr_spill_count: 0
    .wavefront_size: 64
  - .args:
      - .offset:         0
        .size:           8
        .value_kind:     by_value
      - .offset:         8
        .size:           8
        .value_kind:     by_value
      - .offset:         16
        .size:           8
        .value_kind:     by_value
      - .offset:         24
        .size:           8
        .value_kind:     by_value
      - .offset:         32
        .size:           8
        .value_kind:     by_value
      - .address_space:  global
        .offset:         40
        .size:           8
        .value_kind:     global_buffer
      - .offset:         48
        .size:           4
        .value_kind:     by_value
      - .offset:         52
        .size:           1
        .value_kind:     by_value
    .group_segment_fixed_size: 0
    .kernarg_segment_align: 8
    .kernarg_segment_size: 56
    .language:       OpenCL C
    .language_version:
      - 2
      - 0
    .max_flat_workgroup_size: 256
    .name:           _ZN9rocsparseL15scale_2d_kernelILj256ElfEEvT0_S1_llNS_24const_host_device_scalarIT1_EEPS3_16rocsparse_order_b
    .private_segment_fixed_size: 0
    .sgpr_count:     27
    .sgpr_spill_count: 0
    .symbol:         _ZN9rocsparseL15scale_2d_kernelILj256ElfEEvT0_S1_llNS_24const_host_device_scalarIT1_EEPS3_16rocsparse_order_b.kd
    .uniform_work_group_size: 1
    .uses_dynamic_stack: false
    .vgpr_count:     11
    .vgpr_spill_count: 0
    .wavefront_size: 64
  - .args:
      - .offset:         0
        .size:           8
        .value_kind:     by_value
      - .offset:         8
        .size:           8
        .value_kind:     by_value
      - .offset:         16
        .size:           8
        .value_kind:     by_value
      - .offset:         24
        .size:           8
        .value_kind:     by_value
      - .offset:         32
        .size:           8
        .value_kind:     by_value
      - .address_space:  global
        .offset:         40
        .size:           8
        .value_kind:     global_buffer
      - .offset:         48
        .size:           4
        .value_kind:     by_value
      - .offset:         52
        .size:           1
        .value_kind:     by_value
    .group_segment_fixed_size: 0
    .kernarg_segment_align: 8
    .kernarg_segment_size: 56
    .language:       OpenCL C
    .language_version:
      - 2
      - 0
    .max_flat_workgroup_size: 256
    .name:           _ZN9rocsparseL15scale_2d_kernelILj256EldEEvT0_S1_llNS_24const_host_device_scalarIT1_EEPS3_16rocsparse_order_b
    .private_segment_fixed_size: 0
    .sgpr_count:     26
    .sgpr_spill_count: 0
    .symbol:         _ZN9rocsparseL15scale_2d_kernelILj256EldEEvT0_S1_llNS_24const_host_device_scalarIT1_EEPS3_16rocsparse_order_b.kd
    .uniform_work_group_size: 1
    .uses_dynamic_stack: false
    .vgpr_count:     13
    .vgpr_spill_count: 0
    .wavefront_size: 64
  - .args:
      - .offset:         0
        .size:           8
        .value_kind:     by_value
      - .offset:         8
        .size:           8
        .value_kind:     by_value
      - .offset:         16
        .size:           8
        .value_kind:     by_value
      - .offset:         24
        .size:           8
        .value_kind:     by_value
      - .offset:         32
        .size:           8
        .value_kind:     by_value
      - .address_space:  global
        .offset:         40
        .size:           8
        .value_kind:     global_buffer
      - .offset:         48
        .size:           4
        .value_kind:     by_value
      - .offset:         52
        .size:           1
        .value_kind:     by_value
    .group_segment_fixed_size: 0
    .kernarg_segment_align: 8
    .kernarg_segment_size: 56
    .language:       OpenCL C
    .language_version:
      - 2
      - 0
    .max_flat_workgroup_size: 256
    .name:           _ZN9rocsparseL15scale_2d_kernelILj256El21rocsparse_complex_numIfEEEvT0_S3_llNS_24const_host_device_scalarIT1_EEPS5_16rocsparse_order_b
    .private_segment_fixed_size: 0
    .sgpr_count:     26
    .sgpr_spill_count: 0
    .symbol:         _ZN9rocsparseL15scale_2d_kernelILj256El21rocsparse_complex_numIfEEEvT0_S3_llNS_24const_host_device_scalarIT1_EEPS5_16rocsparse_order_b.kd
    .uniform_work_group_size: 1
    .uses_dynamic_stack: false
    .vgpr_count:     13
    .vgpr_spill_count: 0
    .wavefront_size: 64
  - .args:
      - .offset:         0
        .size:           8
        .value_kind:     by_value
      - .offset:         8
        .size:           8
        .value_kind:     by_value
      - .offset:         16
        .size:           8
        .value_kind:     by_value
      - .offset:         24
        .size:           8
        .value_kind:     by_value
      - .offset:         32
        .size:           16
        .value_kind:     by_value
      - .address_space:  global
        .offset:         48
        .size:           8
        .value_kind:     global_buffer
      - .offset:         56
        .size:           4
        .value_kind:     by_value
      - .offset:         60
        .size:           1
        .value_kind:     by_value
    .group_segment_fixed_size: 0
    .kernarg_segment_align: 8
    .kernarg_segment_size: 64
    .language:       OpenCL C
    .language_version:
      - 2
      - 0
    .max_flat_workgroup_size: 256
    .name:           _ZN9rocsparseL15scale_2d_kernelILj256El21rocsparse_complex_numIdEEEvT0_S3_llNS_24const_host_device_scalarIT1_EEPS5_16rocsparse_order_b
    .private_segment_fixed_size: 0
    .sgpr_count:     26
    .sgpr_spill_count: 0
    .symbol:         _ZN9rocsparseL15scale_2d_kernelILj256El21rocsparse_complex_numIdEEEvT0_S3_llNS_24const_host_device_scalarIT1_EEPS5_16rocsparse_order_b.kd
    .uniform_work_group_size: 1
    .uses_dynamic_stack: false
    .vgpr_count:     15
    .vgpr_spill_count: 0
    .wavefront_size: 64
  - .args:
      - .offset:         0
        .size:           8
        .value_kind:     by_value
      - .address_space:  global
        .offset:         8
        .size:           8
        .value_kind:     global_buffer
      - .address_space:  global
        .offset:         16
        .size:           8
        .value_kind:     global_buffer
      - .offset:         24
        .size:           4
        .value_kind:     by_value
      - .offset:         28
        .size:           4
        .value_kind:     by_value
    .group_segment_fixed_size: 0
    .kernarg_segment_align: 8
    .kernarg_segment_size: 32
    .language:       OpenCL C
    .language_version:
      - 2
      - 0
    .max_flat_workgroup_size: 256
    .name:           _ZN9rocsparseL11copy_kernelILj256EiiEEvlPKT0_PT1_21rocsparse_index_base_S6_
    .private_segment_fixed_size: 0
    .sgpr_count:     11
    .sgpr_spill_count: 0
    .symbol:         _ZN9rocsparseL11copy_kernelILj256EiiEEvlPKT0_PT1_21rocsparse_index_base_S6_.kd
    .uniform_work_group_size: 1
    .uses_dynamic_stack: false
    .vgpr_count:     4
    .vgpr_spill_count: 0
    .wavefront_size: 64
  - .args:
      - .offset:         0
        .size:           8
        .value_kind:     by_value
      - .address_space:  global
        .offset:         8
        .size:           8
        .value_kind:     global_buffer
      - .address_space:  global
        .offset:         16
        .size:           8
        .value_kind:     global_buffer
      - .offset:         24
        .size:           4
        .value_kind:     by_value
      - .offset:         28
        .size:           4
        .value_kind:     by_value
    .group_segment_fixed_size: 0
    .kernarg_segment_align: 8
    .kernarg_segment_size: 32
    .language:       OpenCL C
    .language_version:
      - 2
      - 0
    .max_flat_workgroup_size: 256
    .name:           _ZN9rocsparseL11copy_kernelILj256EilEEvlPKT0_PT1_21rocsparse_index_base_S6_
    .private_segment_fixed_size: 0
    .sgpr_count:     11
    .sgpr_spill_count: 0
    .symbol:         _ZN9rocsparseL11copy_kernelILj256EilEEvlPKT0_PT1_21rocsparse_index_base_S6_.kd
    .uniform_work_group_size: 1
    .uses_dynamic_stack: false
    .vgpr_count:     5
    .vgpr_spill_count: 0
    .wavefront_size: 64
  - .args:
      - .offset:         0
        .size:           8
        .value_kind:     by_value
      - .address_space:  global
        .offset:         8
        .size:           8
        .value_kind:     global_buffer
      - .address_space:  global
        .offset:         16
        .size:           8
        .value_kind:     global_buffer
      - .offset:         24
        .size:           4
        .value_kind:     by_value
      - .offset:         28
        .size:           4
        .value_kind:     by_value
    .group_segment_fixed_size: 0
    .kernarg_segment_align: 8
    .kernarg_segment_size: 32
    .language:       OpenCL C
    .language_version:
      - 2
      - 0
    .max_flat_workgroup_size: 256
    .name:           _ZN9rocsparseL11copy_kernelILj256EliEEvlPKT0_PT1_21rocsparse_index_base_S6_
    .private_segment_fixed_size: 0
    .sgpr_count:     11
    .sgpr_spill_count: 0
    .symbol:         _ZN9rocsparseL11copy_kernelILj256EliEEvlPKT0_PT1_21rocsparse_index_base_S6_.kd
    .uniform_work_group_size: 1
    .uses_dynamic_stack: false
    .vgpr_count:     5
    .vgpr_spill_count: 0
    .wavefront_size: 64
  - .args:
      - .offset:         0
        .size:           8
        .value_kind:     by_value
      - .address_space:  global
        .offset:         8
        .size:           8
        .value_kind:     global_buffer
      - .address_space:  global
        .offset:         16
        .size:           8
        .value_kind:     global_buffer
      - .offset:         24
        .size:           4
        .value_kind:     by_value
      - .offset:         28
        .size:           4
        .value_kind:     by_value
    .group_segment_fixed_size: 0
    .kernarg_segment_align: 8
    .kernarg_segment_size: 32
    .language:       OpenCL C
    .language_version:
      - 2
      - 0
    .max_flat_workgroup_size: 256
    .name:           _ZN9rocsparseL11copy_kernelILj256EllEEvlPKT0_PT1_21rocsparse_index_base_S6_
    .private_segment_fixed_size: 0
    .sgpr_count:     11
    .sgpr_spill_count: 0
    .symbol:         _ZN9rocsparseL11copy_kernelILj256EllEEvlPKT0_PT1_21rocsparse_index_base_S6_.kd
    .uniform_work_group_size: 1
    .uses_dynamic_stack: false
    .vgpr_count:     5
    .vgpr_spill_count: 0
    .wavefront_size: 64
  - .args:
      - .offset:         0
        .size:           8
        .value_kind:     by_value
      - .address_space:  global
        .offset:         8
        .size:           8
        .value_kind:     global_buffer
      - .address_space:  global
        .offset:         16
        .size:           8
        .value_kind:     global_buffer
      - .offset:         24
        .size:           8
        .value_kind:     by_value
      - .offset:         32
        .size:           1
        .value_kind:     by_value
    .group_segment_fixed_size: 0
    .kernarg_segment_align: 8
    .kernarg_segment_size: 36
    .language:       OpenCL C
    .language_version:
      - 2
      - 0
    .max_flat_workgroup_size: 256
    .name:           _ZN9rocsparseL21copy_and_scale_kernelILj256EfEEvlPKT0_PS1_NS_24const_host_device_scalarIS1_EEb
    .private_segment_fixed_size: 0
    .sgpr_count:     20
    .sgpr_spill_count: 0
    .symbol:         _ZN9rocsparseL21copy_and_scale_kernelILj256EfEEvlPKT0_PS1_NS_24const_host_device_scalarIS1_EEb.kd
    .uniform_work_group_size: 1
    .uses_dynamic_stack: false
    .vgpr_count:     4
    .vgpr_spill_count: 0
    .wavefront_size: 64
  - .args:
      - .offset:         0
        .size:           8
        .value_kind:     by_value
      - .address_space:  global
        .offset:         8
        .size:           8
        .value_kind:     global_buffer
      - .address_space:  global
        .offset:         16
        .size:           8
        .value_kind:     global_buffer
      - .offset:         24
        .size:           8
        .value_kind:     by_value
      - .offset:         32
        .size:           1
        .value_kind:     by_value
    .group_segment_fixed_size: 0
    .kernarg_segment_align: 8
    .kernarg_segment_size: 36
    .language:       OpenCL C
    .language_version:
      - 2
      - 0
    .max_flat_workgroup_size: 256
    .name:           _ZN9rocsparseL21copy_and_scale_kernelILj256EdEEvlPKT0_PS1_NS_24const_host_device_scalarIS1_EEb
    .private_segment_fixed_size: 0
    .sgpr_count:     20
    .sgpr_spill_count: 0
    .symbol:         _ZN9rocsparseL21copy_and_scale_kernelILj256EdEEvlPKT0_PS1_NS_24const_host_device_scalarIS1_EEb.kd
    .uniform_work_group_size: 1
    .uses_dynamic_stack: false
    .vgpr_count:     7
    .vgpr_spill_count: 0
    .wavefront_size: 64
  - .args:
      - .offset:         0
        .size:           8
        .value_kind:     by_value
      - .address_space:  global
        .offset:         8
        .size:           8
        .value_kind:     global_buffer
      - .address_space:  global
        .offset:         16
        .size:           8
        .value_kind:     global_buffer
      - .offset:         24
        .size:           8
        .value_kind:     by_value
      - .offset:         32
        .size:           1
        .value_kind:     by_value
    .group_segment_fixed_size: 0
    .kernarg_segment_align: 8
    .kernarg_segment_size: 36
    .language:       OpenCL C
    .language_version:
      - 2
      - 0
    .max_flat_workgroup_size: 256
    .name:           _ZN9rocsparseL21copy_and_scale_kernelILj256E21rocsparse_complex_numIfEEEvlPKT0_PS3_NS_24const_host_device_scalarIS3_EEb
    .private_segment_fixed_size: 0
    .sgpr_count:     20
    .sgpr_spill_count: 0
    .symbol:         _ZN9rocsparseL21copy_and_scale_kernelILj256E21rocsparse_complex_numIfEEEvlPKT0_PS3_NS_24const_host_device_scalarIS3_EEb.kd
    .uniform_work_group_size: 1
    .uses_dynamic_stack: false
    .vgpr_count:     8
    .vgpr_spill_count: 0
    .wavefront_size: 64
  - .args:
      - .offset:         0
        .size:           8
        .value_kind:     by_value
      - .address_space:  global
        .offset:         8
        .size:           8
        .value_kind:     global_buffer
      - .address_space:  global
        .offset:         16
        .size:           8
        .value_kind:     global_buffer
      - .offset:         24
        .size:           16
        .value_kind:     by_value
      - .offset:         40
        .size:           1
        .value_kind:     by_value
    .group_segment_fixed_size: 0
    .kernarg_segment_align: 8
    .kernarg_segment_size: 44
    .language:       OpenCL C
    .language_version:
      - 2
      - 0
    .max_flat_workgroup_size: 256
    .name:           _ZN9rocsparseL21copy_and_scale_kernelILj256E21rocsparse_complex_numIdEEEvlPKT0_PS3_NS_24const_host_device_scalarIS3_EEb
    .private_segment_fixed_size: 16
    .sgpr_count:     26
    .sgpr_spill_count: 0
    .symbol:         _ZN9rocsparseL21copy_and_scale_kernelILj256E21rocsparse_complex_numIdEEEvlPKT0_PS3_NS_24const_host_device_scalarIS3_EEb.kd
    .uniform_work_group_size: 1
    .uses_dynamic_stack: false
    .vgpr_count:     12
    .vgpr_spill_count: 0
    .wavefront_size: 64
amdhsa.target:   amdgcn-amd-amdhsa--gfx906
amdhsa.version:
  - 1
  - 2
...

	.end_amdgpu_metadata
